;; amdgpu-corpus repo=ROCm/rocFFT kind=compiled arch=gfx1030 opt=O3
	.text
	.amdgcn_target "amdgcn-amd-amdhsa--gfx1030"
	.amdhsa_code_object_version 6
	.protected	bluestein_single_back_len312_dim1_half_op_CI_CI ; -- Begin function bluestein_single_back_len312_dim1_half_op_CI_CI
	.globl	bluestein_single_back_len312_dim1_half_op_CI_CI
	.p2align	8
	.type	bluestein_single_back_len312_dim1_half_op_CI_CI,@function
bluestein_single_back_len312_dim1_half_op_CI_CI: ; @bluestein_single_back_len312_dim1_half_op_CI_CI
; %bb.0:
	s_load_dwordx4 s[0:3], s[4:5], 0x28
	v_mul_u32_u24_e32 v1, 0x9d9, v0
	v_mov_b32_e32 v10, 0
	v_lshrrev_b32_e32 v1, 16, v1
	v_lshl_add_u32 v9, s6, 1, v1
	s_waitcnt lgkmcnt(0)
	v_cmp_gt_u64_e32 vcc_lo, s[0:1], v[9:10]
	s_and_saveexec_b32 s0, vcc_lo
	s_cbranch_execz .LBB0_15
; %bb.1:
	v_mul_lo_u16 v2, v1, 26
	s_clause 0x1
	s_load_dwordx2 s[24:25], s[4:5], 0x0
	s_load_dwordx2 s[6:7], s[4:5], 0x38
	v_and_b32_e32 v1, 1, v1
	v_sub_nc_u16 v0, v0, v2
	v_cmp_eq_u32_e32 vcc_lo, 1, v1
	v_and_b32_e32 v30, 0xffff, v0
	v_cndmask_b32_e64 v31, 0, 0x138, vcc_lo
	v_cmp_gt_u16_e32 vcc_lo, 24, v0
	v_lshlrev_b32_e32 v28, 2, v30
	v_or_b32_e32 v29, 0x60, v30
	v_lshlrev_b32_e32 v32, 2, v31
	v_or_b32_e32 v27, 0xc0, v30
	v_or_b32_e32 v26, 0x120, v30
	s_and_saveexec_b32 s1, vcc_lo
	s_cbranch_execz .LBB0_3
; %bb.2:
	s_load_dwordx2 s[8:9], s[4:5], 0x18
	v_lshl_add_u32 v34, v30, 2, v32
	v_add_nc_u32_e32 v35, v32, v28
	s_waitcnt lgkmcnt(0)
	s_load_dwordx4 s[8:11], s[8:9], 0x0
	s_clause 0x3
	global_load_dword v17, v28, s[24:25]
	global_load_dword v18, v28, s[24:25] offset:96
	global_load_dword v19, v28, s[24:25] offset:768
	;; [unrolled: 1-line block ×3, first 2 shown]
	s_waitcnt lgkmcnt(0)
	v_mad_u64_u32 v[0:1], null, s10, v9, 0
	v_mad_u64_u32 v[2:3], null, s8, v30, 0
	;; [unrolled: 1-line block ×5, first 2 shown]
	s_mul_i32 s0, s9, 0x60
	s_mul_hi_u32 s10, s8, 0x60
	v_mov_b32_e32 v8, v11
	v_mad_u64_u32 v[11:12], null, s11, v9, v[1:2]
	v_mad_u64_u32 v[12:13], null, s9, v30, v[3:4]
	;; [unrolled: 1-line block ×4, first 2 shown]
	v_mov_b32_e32 v1, v11
	v_mad_u64_u32 v[15:16], null, s9, v26, v[8:9]
	v_mov_b32_e32 v3, v12
	v_mov_b32_e32 v7, v13
	v_lshlrev_b64 v[0:1], 2, v[0:1]
	s_add_i32 s10, s10, s0
	s_mul_i32 s11, s8, 0x60
	v_lshlrev_b64 v[2:3], 2, v[2:3]
	v_mov_b32_e32 v11, v15
	v_lshlrev_b64 v[6:7], 2, v[6:7]
	v_add_co_u32 v8, s0, s2, v0
	v_add_co_ci_u32_e64 v12, s0, s3, v1, s0
	v_lshlrev_b64 v[0:1], 2, v[10:11]
	v_add_co_u32 v2, s0, v8, v2
	v_add_co_ci_u32_e64 v3, s0, v12, v3, s0
	v_add_co_u32 v6, s0, v8, v6
	v_add_co_ci_u32_e64 v7, s0, v12, v7, s0
	v_add_co_u32 v0, s0, v8, v0
	v_add_co_ci_u32_e64 v1, s0, v12, v1, s0
	global_load_dword v10, v[2:3], off
	v_add_co_u32 v2, s0, v2, s11
	v_add_co_ci_u32_e64 v3, s0, s10, v3, s0
	s_clause 0x1
	global_load_dword v6, v[6:7], off
	global_load_dword v7, v[0:1], off
	v_add_co_u32 v0, s0, v2, s11
	v_add_co_ci_u32_e64 v1, s0, s10, v3, s0
	global_load_dword v11, v[2:3], off
	v_add_co_u32 v2, s0, v0, s11
	v_mov_b32_e32 v5, v14
	v_add_co_ci_u32_e64 v3, s0, s10, v1, s0
	global_load_dword v13, v28, s[24:25] offset:192
	global_load_dword v14, v[0:1], off
	s_mul_i32 s2, s9, 0xc0
	v_lshlrev_b64 v[4:5], 2, v[4:5]
	v_mad_u64_u32 v[0:1], null, 0xc0, s8, v[2:3]
	v_add_co_u32 v4, s0, v8, v4
	v_add_co_ci_u32_e64 v5, s0, v12, v5, s0
	v_add_nc_u32_e32 v1, s2, v1
	s_clause 0x1
	global_load_dword v8, v28, s[24:25] offset:288
	global_load_dword v12, v28, s[24:25] offset:384
	s_clause 0x2
	global_load_dword v15, v[2:3], off
	global_load_dword v16, v[4:5], off
	;; [unrolled: 1-line block ×3, first 2 shown]
	v_add_co_u32 v2, s0, v0, s11
	v_add_co_ci_u32_e64 v3, s0, s10, v1, s0
	global_load_dword v22, v28, s[24:25] offset:480
	global_load_dword v23, v[2:3], off
	s_clause 0x1
	global_load_dword v24, v28, s[24:25] offset:576
	global_load_dword v25, v28, s[24:25] offset:672
	v_add_co_u32 v4, s0, v2, s11
	v_add_co_ci_u32_e64 v5, s0, s10, v3, s0
	v_mad_u64_u32 v[0:1], null, 0xc0, s8, v[4:5]
	global_load_dword v4, v[4:5], off
	v_add_nc_u32_e32 v1, s2, v1
	v_add_co_u32 v2, s0, v0, s11
	v_add_co_ci_u32_e64 v3, s0, s10, v1, s0
	global_load_dword v5, v[0:1], off
	v_add_co_u32 v0, s0, v2, s11
	v_add_co_ci_u32_e64 v1, s0, s10, v3, s0
	global_load_dword v33, v28, s[24:25] offset:864
	global_load_dword v2, v[2:3], off
	global_load_dword v0, v[0:1], off
	s_clause 0x1
	global_load_dword v1, v28, s[24:25] offset:960
	global_load_dword v3, v28, s[24:25] offset:1056
	s_waitcnt vmcnt(21)
	v_lshrrev_b32_e32 v36, 16, v10
	v_mul_f16_sdwa v37, v17, v10 dst_sel:DWORD dst_unused:UNUSED_PAD src0_sel:WORD_1 src1_sel:DWORD
	s_waitcnt vmcnt(20)
	v_lshrrev_b32_e32 v38, 16, v6
	v_mul_f16_sdwa v39, v19, v6 dst_sel:DWORD dst_unused:UNUSED_PAD src0_sel:WORD_1 src1_sel:DWORD
	;; [unrolled: 3-line block ×3, first 2 shown]
	v_fma_f16 v36, v17, v36, -v37
	v_mul_f16_sdwa v41, v20, v7 dst_sel:DWORD dst_unused:UNUSED_PAD src0_sel:WORD_1 src1_sel:DWORD
	s_waitcnt vmcnt(18)
	v_lshrrev_b32_e32 v37, 16, v11
	v_mul_f16_sdwa v43, v18, v11 dst_sel:DWORD dst_unused:UNUSED_PAD src0_sel:WORD_1 src1_sel:DWORD
	v_mul_f16_sdwa v44, v19, v38 dst_sel:DWORD dst_unused:UNUSED_PAD src0_sel:WORD_1 src1_sel:DWORD
	v_fma_f16 v38, v19, v38, -v39
	v_mul_f16_sdwa v39, v20, v40 dst_sel:DWORD dst_unused:UNUSED_PAD src0_sel:WORD_1 src1_sel:DWORD
	v_fmac_f16_e32 v42, v17, v10
	v_mul_f16_sdwa v10, v18, v37 dst_sel:DWORD dst_unused:UNUSED_PAD src0_sel:WORD_1 src1_sel:DWORD
	v_fma_f16 v17, v18, v37, -v43
	s_waitcnt vmcnt(16)
	v_lshrrev_b32_e32 v37, 16, v14
	v_fma_f16 v40, v20, v40, -v41
	v_mul_f16_sdwa v41, v13, v14 dst_sel:DWORD dst_unused:UNUSED_PAD src0_sel:WORD_1 src1_sel:DWORD
	v_fmac_f16_e32 v44, v19, v6
	v_fmac_f16_e32 v39, v20, v7
	v_pack_b32_f16 v6, v42, v36
	v_fmac_f16_e32 v10, v18, v11
	v_mul_f16_sdwa v7, v13, v37 dst_sel:DWORD dst_unused:UNUSED_PAD src0_sel:WORD_1 src1_sel:DWORD
	v_fma_f16 v11, v13, v37, -v41
	v_pack_b32_f16 v37, v44, v38
	ds_write_b32 v34, v6
	v_pack_b32_f16 v6, v10, v17
	s_waitcnt vmcnt(13)
	v_lshrrev_b32_e32 v18, 16, v15
	s_waitcnt vmcnt(12)
	v_lshrrev_b32_e32 v20, 16, v16
	v_mul_f16_sdwa v19, v8, v15 dst_sel:DWORD dst_unused:UNUSED_PAD src0_sel:WORD_1 src1_sel:DWORD
	v_mul_f16_sdwa v36, v12, v16 dst_sel:DWORD dst_unused:UNUSED_PAD src0_sel:WORD_1 src1_sel:DWORD
	v_fmac_f16_e32 v7, v13, v14
	v_mul_f16_sdwa v10, v8, v18 dst_sel:DWORD dst_unused:UNUSED_PAD src0_sel:WORD_1 src1_sel:DWORD
	v_mul_f16_sdwa v13, v12, v20 dst_sel:DWORD dst_unused:UNUSED_PAD src0_sel:WORD_1 src1_sel:DWORD
	v_fma_f16 v14, v8, v18, -v19
	v_fma_f16 v17, v12, v20, -v36
	v_pack_b32_f16 v7, v7, v11
	v_fmac_f16_e32 v10, v8, v15
	v_fmac_f16_e32 v13, v12, v16
	s_waitcnt vmcnt(11)
	v_lshrrev_b32_e32 v8, 16, v21
	s_waitcnt vmcnt(10)
	v_mul_f16_sdwa v11, v22, v21 dst_sel:DWORD dst_unused:UNUSED_PAD src0_sel:WORD_1 src1_sel:DWORD
	ds_write2_b32 v35, v6, v7 offset0:24 offset1:48
	v_pack_b32_f16 v6, v10, v14
	v_pack_b32_f16 v7, v13, v17
	v_mul_f16_sdwa v10, v22, v8 dst_sel:DWORD dst_unused:UNUSED_PAD src0_sel:WORD_1 src1_sel:DWORD
	v_fma_f16 v8, v22, v8, -v11
	s_waitcnt vmcnt(9)
	v_lshrrev_b32_e32 v11, 16, v23
	s_waitcnt vmcnt(8)
	v_mul_f16_sdwa v12, v24, v23 dst_sel:DWORD dst_unused:UNUSED_PAD src0_sel:WORD_1 src1_sel:DWORD
	ds_write2_b32 v35, v6, v7 offset0:72 offset1:96
	v_fmac_f16_e32 v10, v22, v21
	s_waitcnt vmcnt(6)
	v_lshrrev_b32_e32 v6, 16, v4
	v_mul_f16_sdwa v7, v24, v11 dst_sel:DWORD dst_unused:UNUSED_PAD src0_sel:WORD_1 src1_sel:DWORD
	v_fma_f16 v11, v24, v11, -v12
	v_mul_f16_sdwa v12, v25, v4 dst_sel:DWORD dst_unused:UNUSED_PAD src0_sel:WORD_1 src1_sel:DWORD
	v_pack_b32_f16 v8, v10, v8
	v_mul_f16_sdwa v10, v25, v6 dst_sel:DWORD dst_unused:UNUSED_PAD src0_sel:WORD_1 src1_sel:DWORD
	v_fmac_f16_e32 v7, v24, v23
	v_pack_b32_f16 v38, v39, v40
	v_fma_f16 v6, v25, v6, -v12
	s_waitcnt vmcnt(5)
	v_lshrrev_b32_e32 v13, 16, v5
	v_fmac_f16_e32 v10, v25, v4
	s_waitcnt vmcnt(4)
	v_mul_f16_sdwa v12, v33, v5 dst_sel:DWORD dst_unused:UNUSED_PAD src0_sel:WORD_1 src1_sel:DWORD
	s_waitcnt vmcnt(3)
	v_lshrrev_b32_e32 v4, 16, v2
	s_waitcnt vmcnt(2)
	v_lshrrev_b32_e32 v15, 16, v0
	v_mul_f16_sdwa v14, v33, v13 dst_sel:DWORD dst_unused:UNUSED_PAD src0_sel:WORD_1 src1_sel:DWORD
	s_waitcnt vmcnt(0)
	v_mul_f16_sdwa v17, v3, v0 dst_sel:DWORD dst_unused:UNUSED_PAD src0_sel:WORD_1 src1_sel:DWORD
	v_fma_f16 v12, v33, v13, -v12
	v_mul_f16_sdwa v13, v1, v2 dst_sel:DWORD dst_unused:UNUSED_PAD src0_sel:WORD_1 src1_sel:DWORD
	v_mul_f16_sdwa v16, v1, v4 dst_sel:DWORD dst_unused:UNUSED_PAD src0_sel:WORD_1 src1_sel:DWORD
	;; [unrolled: 1-line block ×3, first 2 shown]
	v_fmac_f16_e32 v14, v33, v5
	v_add_nc_u32_e32 v5, 0x400, v35
	v_fma_f16 v4, v1, v4, -v13
	v_fmac_f16_e32 v16, v1, v2
	v_fma_f16 v1, v3, v15, -v17
	v_fmac_f16_e32 v18, v3, v0
	v_pack_b32_f16 v0, v7, v11
	v_pack_b32_f16 v2, v10, v6
	;; [unrolled: 1-line block ×5, first 2 shown]
	ds_write2_b32 v35, v8, v0 offset0:120 offset1:144
	ds_write2_b32 v35, v2, v37 offset0:168 offset1:192
	;; [unrolled: 1-line block ×4, first 2 shown]
.LBB0_3:
	s_or_b32 exec_lo, exec_lo, s1
	s_clause 0x1
	s_load_dwordx2 s[8:9], s[4:5], 0x20
	s_load_dwordx2 s[2:3], s[4:5], 0x8
	v_mov_b32_e32 v4, 0
                                        ; kill: def $vgpr0 killed $sgpr0 killed $exec
	s_waitcnt lgkmcnt(0)
	s_barrier
	buffer_gl0_inv
                                        ; implicit-def: $vgpr8
                                        ; implicit-def: $vgpr1
                                        ; implicit-def: $vgpr3
                                        ; implicit-def: $vgpr7
                                        ; implicit-def: $vgpr11
                                        ; implicit-def: $vgpr13
	s_and_saveexec_b32 s0, vcc_lo
	s_cbranch_execz .LBB0_5
; %bb.4:
	v_lshl_add_u32 v8, v31, 2, v28
	v_add_nc_u32_e32 v0, 0x200, v8
	ds_read2_b32 v[4:5], v8 offset1:24
	ds_read2_b32 v[12:13], v8 offset0:48 offset1:72
	ds_read2_b32 v[10:11], v8 offset0:96 offset1:120
	ds_read2_b32 v[6:7], v8 offset0:144 offset1:168
	ds_read2_b32 v[2:3], v8 offset0:192 offset1:216
	ds_read2_b32 v[0:1], v0 offset0:112 offset1:136
	ds_read_b32 v8, v8 offset:1152
.LBB0_5:
	s_or_b32 exec_lo, exec_lo, s0
	s_waitcnt lgkmcnt(0)
	v_pk_add_f16 v14, v5, v8 neg_lo:[0,1] neg_hi:[0,1]
	v_mov_b32_e32 v16, 0xb770
	v_pk_add_f16 v19, v8, v5
	v_pk_add_f16 v15, v12, v1 neg_lo:[0,1] neg_hi:[0,1]
	v_mov_b32_e32 v53, 0xba95
	v_mul_f16_e32 v56, 0xb770, v14
	v_mul_f16_sdwa v55, v14, v16 dst_sel:DWORD dst_unused:UNUSED_PAD src0_sel:WORD_1 src1_sel:DWORD
	v_lshrrev_b32_e32 v57, 16, v19
	v_pk_add_f16 v21, v1, v12
	v_mul_f16_sdwa v37, v15, v53 dst_sel:DWORD dst_unused:UNUSED_PAD src0_sel:WORD_1 src1_sel:DWORD
	v_pk_add_f16 v16, v13, v0 neg_lo:[0,1] neg_hi:[0,1]
	v_fmamk_f16 v17, v19, 0x3b15, v55
	v_mov_b32_e32 v54, 0xbbf1
	v_fma_f16 v18, v57, 0x3b15, -v56
	v_fmamk_f16 v20, v21, 0x388b, v37
	v_lshrrev_b32_e32 v43, 16, v21
	v_add_f16_e32 v17, v17, v4
	v_mul_f16_e32 v42, 0xba95, v15
	v_pk_add_f16 v23, v0, v13
	v_add_f16_sdwa v24, v18, v4 dst_sel:DWORD dst_unused:UNUSED_PAD src0_sel:DWORD src1_sel:WORD_1
	v_mul_f16_sdwa v38, v16, v54 dst_sel:DWORD dst_unused:UNUSED_PAD src0_sel:WORD_1 src1_sel:DWORD
	v_pk_add_f16 v18, v10, v3 neg_lo:[0,1] neg_hi:[0,1]
	v_mov_b32_e32 v52, 0xbb7b
	v_add_f16_e32 v17, v20, v17
	v_fma_f16 v20, v43, 0x388b, -v42
	v_lshrrev_b32_e32 v45, 16, v23
	v_fmamk_f16 v25, v23, 0x2fb7, v38
	v_mul_f16_e32 v46, 0xbbf1, v16
	v_pk_add_f16 v22, v3, v10
	v_mul_f16_sdwa v39, v18, v52 dst_sel:DWORD dst_unused:UNUSED_PAD src0_sel:WORD_1 src1_sel:DWORD
	v_add_f16_e32 v20, v20, v24
	v_add_f16_e32 v25, v25, v17
	v_fma_f16 v33, v45, 0x2fb7, -v46
	v_lshrrev_b32_e32 v49, 16, v22
	v_mul_f16_e32 v44, 0xbb7b, v18
	v_fmamk_f16 v34, v22, 0xb5ac, v39
	v_pk_add_f16 v17, v11, v2 neg_lo:[0,1] neg_hi:[0,1]
	v_mov_b32_e32 v59, 0xb94e
	v_pk_add_f16 v24, v2, v11
	v_add_f16_e32 v33, v33, v20
	v_add_f16_e32 v34, v34, v25
	v_fma_f16 v35, v49, 0xb5ac, -v44
	v_mul_f16_sdwa v40, v17, v59 dst_sel:DWORD dst_unused:UNUSED_PAD src0_sel:WORD_1 src1_sel:DWORD
	v_lshrrev_b32_e32 v50, 16, v24
	v_mul_f16_e32 v47, 0xb94e, v17
	v_pk_add_f16 v20, v6, v7 neg_lo:[0,1] neg_hi:[0,1]
	v_mov_b32_e32 v58, 0xb3a8
	v_pk_add_f16 v25, v7, v6
	v_add_f16_e32 v33, v35, v33
	v_fmamk_f16 v35, v24, 0xb9fd, v40
	v_fma_f16 v36, v50, 0xb9fd, -v47
	v_mul_f16_sdwa v41, v20, v58 dst_sel:DWORD dst_unused:UNUSED_PAD src0_sel:WORD_1 src1_sel:DWORD
	v_lshrrev_b32_e32 v51, 16, v25
	v_mul_f16_e32 v48, 0xb3a8, v20
	v_add_f16_e32 v34, v35, v34
	v_add_f16_e32 v33, v36, v33
	v_fmamk_f16 v35, v25, 0xbbc4, v41
	v_fma_f16 v36, v51, 0xbbc4, -v48
	s_barrier
	buffer_gl0_inv
	v_add_f16_e32 v34, v35, v34
	v_add_f16_e32 v35, v36, v33
	v_mul_lo_u16 v33, v30, 13
	s_and_saveexec_b32 s0, vcc_lo
	s_cbranch_execz .LBB0_7
; %bb.6:
	v_alignbit_b32 v36, v4, v4, 16
	v_mul_f16_sdwa v65, v14, v52 dst_sel:DWORD dst_unused:UNUSED_PAD src0_sel:WORD_1 src1_sel:DWORD
	v_mul_f16_e32 v61, 0x3b15, v57
	v_mul_f16_sdwa v62, v14, v53 dst_sel:DWORD dst_unused:UNUSED_PAD src0_sel:WORD_1 src1_sel:DWORD
	v_mul_f16_e32 v60, 0x3b15, v19
	v_pk_add_f16 v5, v5, v36 op_sel:[0,1] op_sel_hi:[1,0]
	v_mul_f16_e32 v63, 0x2fb7, v57
	v_mul_f16_e32 v64, 0xb5ac, v57
	;; [unrolled: 1-line block ×3, first 2 shown]
	v_fmamk_f16 v66, v19, 0x388b, v62
	v_pk_add_f16 v5, v12, v5
	v_add_f16_e32 v56, v56, v61
	v_fmamk_f16 v12, v14, 0x3bf1, v63
	v_fmamk_f16 v61, v14, 0x3b7b, v64
	v_sub_f16_e32 v55, v60, v55
	v_pk_add_f16 v5, v13, v5
	v_mul_f16_sdwa v13, v14, v59 dst_sel:DWORD dst_unused:UNUSED_PAD src0_sel:WORD_1 src1_sel:DWORD
	v_fmamk_f16 v59, v19, 0xb5ac, v65
	v_fma_f16 v65, v19, 0xb5ac, -v65
	v_add_f16_e32 v60, v66, v4
	v_pk_add_f16 v5, v10, v5
	v_fmamk_f16 v66, v14, 0x394e, v57
	v_fmamk_f16 v67, v19, 0xb9fd, v13
	v_add_f16_e32 v10, v65, v4
	v_mul_f16_sdwa v65, v15, v52 dst_sel:DWORD dst_unused:UNUSED_PAD src0_sel:WORD_1 src1_sel:DWORD
	v_pk_add_f16 v5, v11, v5
	v_fmac_f16_e32 v57, 0xb94e, v14
	v_fma_f16 v13, v19, 0xb9fd, -v13
	v_fmac_f16_e32 v64, 0xbb7b, v14
	v_fmac_f16_e32 v63, 0xbbf1, v14
	v_fma_f16 v62, v19, 0x388b, -v62
	v_add_f16_sdwa v11, v56, v4 dst_sel:DWORD dst_unused:UNUSED_PAD src0_sel:DWORD src1_sel:WORD_1
	v_fmamk_f16 v56, v21, 0xb5ac, v65
	v_mul_f16_sdwa v58, v16, v58 dst_sel:DWORD dst_unused:UNUSED_PAD src0_sel:WORD_1 src1_sel:DWORD
	v_pk_add_f16 v5, v6, v5
	v_mov_b32_e32 v6, 0x394e
	v_add_f16_sdwa v12, v12, v4 dst_sel:DWORD dst_unused:UNUSED_PAD src0_sel:DWORD src1_sel:WORD_1
	v_add_f16_sdwa v61, v61, v4 dst_sel:DWORD dst_unused:UNUSED_PAD src0_sel:DWORD src1_sel:WORD_1
	v_add_f16_e32 v59, v59, v4
	v_add_f16_sdwa v66, v66, v4 dst_sel:DWORD dst_unused:UNUSED_PAD src0_sel:DWORD src1_sel:WORD_1
	v_add_f16_e32 v67, v67, v4
	;; [unrolled: 2-line block ×3, first 2 shown]
	v_add_f16_sdwa v64, v64, v4 dst_sel:DWORD dst_unused:UNUSED_PAD src0_sel:DWORD src1_sel:WORD_1
	v_add_f16_sdwa v63, v63, v4 dst_sel:DWORD dst_unused:UNUSED_PAD src0_sel:DWORD src1_sel:WORD_1
	v_add_f16_e32 v62, v62, v4
	v_add_f16_e32 v4, v55, v4
	;; [unrolled: 1-line block ×3, first 2 shown]
	v_fmamk_f16 v56, v23, 0xbbc4, v58
	v_mul_f16_e32 v60, 0xbbc4, v43
	v_pk_add_f16 v5, v7, v5
	v_mul_f16_sdwa v7, v18, v6 dst_sel:DWORD dst_unused:UNUSED_PAD src0_sel:WORD_1 src1_sel:DWORD
	v_mov_b32_e32 v68, 0x3bf1
	v_add_f16_e32 v55, v56, v55
	v_fmamk_f16 v56, v15, 0x33a8, v60
	v_mul_f16_e32 v69, 0xb5ac, v45
	v_fmamk_f16 v70, v22, 0xb9fd, v7
	v_mul_f16_sdwa v71, v17, v68 dst_sel:DWORD dst_unused:UNUSED_PAD src0_sel:WORD_1 src1_sel:DWORD
	v_mul_f16_e32 v73, 0x3b15, v49
	v_add_f16_e32 v12, v56, v12
	v_fmamk_f16 v56, v16, 0xbb7b, v69
	v_add_f16_e32 v55, v70, v55
	v_fmamk_f16 v70, v24, 0x2fb7, v71
	v_mul_f16_e32 v75, 0x388b, v50
	v_mul_f16_e32 v77, 0xb9fd, v51
	v_add_f16_e32 v12, v56, v12
	v_fmamk_f16 v56, v18, 0xb770, v73
	v_add_f16_e32 v55, v70, v55
	v_mul_f16_e32 v70, 0xb9fd, v43
	v_mul_f16_e32 v79, 0x3b15, v45
	v_mul_f16_sdwa v6, v15, v6 dst_sel:DWORD dst_unused:UNUSED_PAD src0_sel:WORD_1 src1_sel:DWORD
	v_add_f16_e32 v12, v56, v12
	v_fmamk_f16 v56, v17, 0x3a95, v75
	v_fmamk_f16 v78, v15, 0xb94e, v70
	v_mov_b32_e32 v72, 0x3770
	v_fmamk_f16 v80, v21, 0xb9fd, v6
	v_mul_f16_e32 v85, 0x388b, v45
	v_add_f16_e32 v12, v56, v12
	v_fmamk_f16 v56, v20, 0x394e, v77
	v_add_f16_e32 v61, v78, v61
	v_fmamk_f16 v78, v16, 0xb770, v79
	v_add_f16_e32 v59, v80, v59
	v_mul_f16_e32 v80, 0x2fb7, v43
	v_add_f16_e32 v12, v56, v12
	v_mul_f16_sdwa v74, v20, v72 dst_sel:DWORD dst_unused:UNUSED_PAD src0_sel:WORD_1 src1_sel:DWORD
	v_add_f16_e32 v56, v78, v61
	v_mul_f16_e32 v78, 0x2fb7, v49
	v_fmamk_f16 v84, v15, 0xbbf1, v80
	v_mul_f16_sdwa v68, v15, v68 dst_sel:DWORD dst_unused:UNUSED_PAD src0_sel:WORD_1 src1_sel:DWORD
	v_fmamk_f16 v76, v25, 0x3b15, v74
	v_mul_f16_e32 v86, 0x3b15, v50
	v_fmamk_f16 v83, v18, 0x3bf1, v78
	v_add_f16_e32 v66, v84, v66
	v_mul_f16_e32 v84, 0xbbc4, v49
	v_add_f16_e32 v55, v76, v55
	v_mov_b32_e32 v76, 0x33a8
	v_add_f16_e32 v56, v83, v56
	v_fmamk_f16 v83, v16, 0x3a95, v85
	v_fmamk_f16 v87, v21, 0x2fb7, v68
	v_mul_f16_sdwa v53, v16, v53 dst_sel:DWORD dst_unused:UNUSED_PAD src0_sel:WORD_1 src1_sel:DWORD
	v_fma_f16 v68, v21, 0x2fb7, -v68
	v_mul_f16_sdwa v81, v16, v72 dst_sel:DWORD dst_unused:UNUSED_PAD src0_sel:WORD_1 src1_sel:DWORD
	v_add_f16_e32 v66, v83, v66
	v_fmamk_f16 v83, v18, 0xb3a8, v84
	v_mul_f16_sdwa v82, v17, v76 dst_sel:DWORD dst_unused:UNUSED_PAD src0_sel:WORD_1 src1_sel:DWORD
	v_mul_f16_e32 v88, 0xb5ac, v51
	v_add_f16_e32 v67, v87, v67
	v_fmamk_f16 v87, v23, 0x388b, v53
	v_add_f16_e32 v66, v83, v66
	v_fmamk_f16 v83, v17, 0xb770, v86
	v_mul_f16_sdwa v76, v18, v76 dst_sel:DWORD dst_unused:UNUSED_PAD src0_sel:WORD_1 src1_sel:DWORD
	v_add_f16_e32 v13, v68, v13
	v_fma_f16 v53, v23, 0x388b, -v53
	v_fmamk_f16 v61, v23, 0x3b15, v81
	v_mul_f16_sdwa v54, v18, v54 dst_sel:DWORD dst_unused:UNUSED_PAD src0_sel:WORD_1 src1_sel:DWORD
	v_add_f16_e32 v66, v83, v66
	v_fmamk_f16 v83, v20, 0x3b7b, v88
	v_add_f16_e32 v67, v87, v67
	v_fmamk_f16 v87, v22, 0xbbc4, v76
	v_mul_f16_sdwa v72, v17, v72 dst_sel:DWORD dst_unused:UNUSED_PAD src0_sel:WORD_1 src1_sel:DWORD
	v_add_f16_e32 v13, v53, v13
	v_fma_f16 v53, v22, 0xbbc4, -v76
	v_fmac_f16_e32 v70, 0x394e, v15
	v_add_f16_e32 v59, v61, v59
	v_fmamk_f16 v61, v22, 0x2fb7, v54
	v_add_f16_e32 v66, v83, v66
	v_add_f16_e32 v67, v87, v67
	v_fmamk_f16 v83, v24, 0x3b15, v72
	v_mul_f16_sdwa v52, v20, v52 dst_sel:DWORD dst_unused:UNUSED_PAD src0_sel:WORD_1 src1_sel:DWORD
	v_add_f16_e32 v13, v53, v13
	v_fma_f16 v53, v24, 0x3b15, -v72
	v_add_f16_e32 v64, v70, v64
	v_fmac_f16_e32 v79, 0x3770, v16
	v_fma_f16 v6, v21, 0xb9fd, -v6
	v_add_f16_e32 v59, v61, v59
	v_fmamk_f16 v61, v24, 0xbbc4, v82
	v_add_f16_e32 v67, v83, v67
	v_fmamk_f16 v68, v25, 0xb5ac, v52
	v_add_f16_e32 v13, v53, v13
	v_fma_f16 v52, v25, 0xb5ac, -v52
	v_add_f16_e32 v53, v79, v64
	v_fmac_f16_e32 v78, 0xbbf1, v18
	v_mul_f16_e32 v64, 0xbbc4, v50
	v_add_f16_e32 v6, v6, v10
	v_fma_f16 v10, v23, 0x3b15, -v81
	v_fmac_f16_e32 v60, 0xb3a8, v15
	v_add_f16_e32 v59, v61, v59
	v_mov_b32_e32 v61, 0x3a95
	v_add_f16_e32 v67, v68, v67
	v_add_f16_e32 v13, v52, v13
	;; [unrolled: 1-line block ×3, first 2 shown]
	v_fmamk_f16 v53, v17, 0xb3a8, v64
	v_fmac_f16_e32 v64, 0x33a8, v17
	v_mul_f16_e32 v68, 0x388b, v51
	v_add_f16_e32 v6, v10, v6
	v_fma_f16 v10, v22, 0x2fb7, -v54
	v_add_f16_e32 v54, v60, v63
	v_fmac_f16_e32 v69, 0x3b7b, v16
	v_mul_f16_sdwa v61, v20, v61 dst_sel:DWORD dst_unused:UNUSED_PAD src0_sel:WORD_1 src1_sel:DWORD
	v_add_f16_e32 v52, v64, v52
	v_fmamk_f16 v60, v20, 0x3a95, v68
	v_add_f16_e32 v6, v10, v6
	v_fma_f16 v10, v24, 0xbbc4, -v82
	v_add_f16_e32 v54, v69, v54
	v_fmac_f16_e32 v73, 0x3770, v18
	v_add_f16_e32 v52, v60, v52
	v_fma_f16 v60, v21, 0xb5ac, -v65
	v_add_f16_e32 v6, v10, v6
	v_fma_f16 v10, v25, 0x388b, -v61
	v_add_f16_e32 v54, v73, v54
	v_fmac_f16_e32 v75, 0xba95, v17
	v_add_f16_e32 v60, v60, v62
	v_fma_f16 v58, v23, 0xbbc4, -v58
	v_add_f16_e32 v6, v10, v6
	v_mul_f16_e32 v10, 0x388b, v43
	v_add_f16_e32 v43, v75, v54
	v_mul_f16_e32 v54, 0x388b, v21
	v_add_f16_e32 v58, v58, v60
	v_mul_f16_e32 v60, 0x2fb7, v23
	v_mul_f16_e32 v45, 0x2fb7, v45
	v_add_f16_e32 v10, v42, v10
	v_sub_f16_e32 v37, v54, v37
	v_mul_f16_e32 v42, 0xb5ac, v22
	v_mul_f16_e32 v49, 0xb5ac, v49
	v_fma_f16 v7, v22, 0xb9fd, -v7
	v_add_f16_e32 v10, v10, v11
	v_pk_mul_f16 v11, 0x388b2fb7, v19
	v_add_f16_e32 v45, v46, v45
	v_add_f16_e32 v4, v37, v4
	v_sub_f16_e32 v38, v60, v38
	v_mul_f16_e32 v50, 0xb9fd, v50
	v_pk_mul_f16 v46, 0xb5acbbc4, v21
	v_add_f16_e32 v7, v7, v58
	v_pk_fma_f16 v58, 0xbbf1ba95, v14, v11 op_sel:[0,0,1] op_sel_hi:[1,1,0] neg_lo:[0,1,0] neg_hi:[0,1,0]
	v_add_f16_e32 v10, v45, v10
	v_add_f16_e32 v44, v44, v49
	v_pk_fma_f16 v11, 0xbbf1ba95, v14, v11 op_sel:[0,0,1] op_sel_hi:[1,1,0]
	v_mul_f16_e32 v37, 0xb9fd, v24
	v_add_f16_e32 v4, v38, v4
	v_sub_f16_e32 v39, v42, v39
	v_pk_add_f16 v2, v2, v5
	v_fmamk_f16 v89, v25, 0x388b, v61
	v_mul_f16_e32 v51, 0xbbc4, v51
	v_pk_fma_f16 v45, 0xb3a8bb7b, v15, v46 op_sel:[0,0,1] op_sel_hi:[1,1,0] neg_lo:[0,1,0] neg_hi:[0,1,0]
	v_fma_f16 v61, v24, 0x2fb7, -v71
	v_pk_mul_f16 v49, 0xbbc4b5ac, v23
	v_add_f16_e32 v10, v44, v10
	v_add_f16_e32 v47, v47, v50
	v_pk_fma_f16 v46, 0xb3a8bb7b, v15, v46 op_sel:[0,0,1] op_sel_hi:[1,1,0]
	v_mul_f16_e32 v38, 0xbbc4, v25
	v_bfi_b32 v5, 0xffff, v11, v58
	v_add_f16_e32 v4, v39, v4
	v_sub_f16_e32 v37, v37, v40
	v_pk_add_f16 v2, v3, v2
	v_add_f16_e32 v7, v61, v7
	v_pk_mul_f16 v61, 0xb9fd3b15, v22
	v_pk_fma_f16 v44, 0x3b7bb3a8, v16, v49 op_sel:[0,0,1] op_sel_hi:[1,1,0] neg_lo:[0,1,0] neg_hi:[0,1,0]
	v_fma_f16 v63, v25, 0x3b15, -v74
	v_add_f16_e32 v10, v47, v10
	v_add_f16_e32 v48, v48, v51
	v_pk_fma_f16 v49, 0x3b7bb3a8, v16, v49 op_sel:[0,0,1] op_sel_hi:[1,1,0]
	v_pk_add_f16 v3, v5, v36
	v_bfi_b32 v5, 0xffff, v46, v45
	v_add_f16_e32 v4, v37, v4
	v_sub_f16_e32 v37, v38, v41
	v_pk_add_f16 v0, v0, v2
	v_and_b32_e32 v2, 0xffff, v33
	v_pk_fma_f16 v50, 0x3770394e, v18, v61 op_sel:[0,0,1] op_sel_hi:[1,1,0] neg_lo:[0,1,0] neg_hi:[0,1,0]
	v_add_f16_e32 v7, v63, v7
	v_pk_mul_f16 v63, 0x2fb7388b, v24
	v_pk_fma_f16 v61, 0x3770394e, v18, v61 op_sel:[0,0,1] op_sel_hi:[1,1,0]
	v_add_f16_e32 v10, v48, v10
	v_pk_add_f16 v3, v5, v3
	v_bfi_b32 v5, 0xffff, v49, v44
	v_add_f16_e32 v4, v37, v4
	v_pk_add_f16 v0, v1, v0
	v_add_lshl_u32 v1, v31, v2, 2
	v_pk_mul_f16 v2, 0xbbc4, v19 op_sel_hi:[0,1]
	v_pk_add_f16 v47, v11, v36
	v_pk_fma_f16 v51, 0xba953bf1, v17, v63 op_sel:[0,0,1] op_sel_hi:[1,1,0] neg_lo:[0,1,0] neg_hi:[0,1,0]
	v_pk_fma_f16 v63, 0xba953bf1, v17, v63 op_sel:[0,0,1] op_sel_hi:[1,1,0]
	v_pk_add_f16 v3, v5, v3
	v_bfi_b32 v5, 0xffff, v61, v50
	v_pk_add_f16 v0, v8, v0
	v_pack_b32_f16 v4, v4, v10
	v_pk_fma_f16 v8, 0xb3a8, v14, v2 op_sel:[0,0,1] op_sel_hi:[0,1,0] neg_lo:[0,1,0] neg_hi:[0,1,0]
	v_pk_mul_f16 v10, 0x3b15, v21 op_sel_hi:[0,1]
	v_pk_fma_f16 v2, 0xb3a8, v14, v2 op_sel:[0,0,1] op_sel_hi:[0,1,0]
	v_pk_add_f16 v47, v46, v47
	v_fmac_f16_e32 v80, 0x3bf1, v15
	v_pk_mul_f16 v54, 0x3b15b9fd, v25
	v_pk_add_f16 v3, v5, v3
	v_bfi_b32 v5, 0xffff, v63, v51
	ds_write2_b32 v1, v0, v4 offset1:1
	v_pk_add_f16 v0, v8, v36
	v_pk_fma_f16 v4, 0x3770, v15, v10 op_sel:[0,0,1] op_sel_hi:[0,1,0] neg_lo:[0,1,0] neg_hi:[0,1,0]
	v_pk_mul_f16 v8, 0xb9fd, v23 op_sel_hi:[0,1]
	v_pk_add_f16 v2, v2, v36
	v_pk_fma_f16 v10, 0x3770, v15, v10 op_sel:[0,0,1] op_sel_hi:[0,1,0]
	v_pk_add_f16 v47, v49, v47
	v_add_f16_e32 v62, v58, v36
	v_add_f16_e32 v57, v80, v57
	v_fmac_f16_e32 v85, 0xba95, v16
	v_pk_fma_f16 v60, 0xb94e3770, v20, v54 op_sel:[0,0,1] op_sel_hi:[1,1,0] neg_lo:[0,1,0] neg_hi:[0,1,0]
	v_pk_add_f16 v3, v5, v3
	v_pk_fma_f16 v5, 0xb94e3770, v20, v54 op_sel:[0,0,1] op_sel_hi:[1,1,0]
	v_pk_add_f16 v0, v4, v0
	v_pk_fma_f16 v4, 0xb94e, v16, v8 op_sel:[0,0,1] op_sel_hi:[0,1,0] neg_lo:[0,1,0] neg_hi:[0,1,0]
	v_pk_mul_f16 v14, 0x388b, v22 op_sel_hi:[0,1]
	v_pk_add_f16 v2, v10, v2
	v_pk_fma_f16 v8, 0xb94e, v16, v8 op_sel:[0,0,1] op_sel_hi:[0,1,0]
	v_pk_add_f16 v47, v61, v47
	v_mul_f16_e32 v11, 0x3a95, v20
	v_add_f16_e32 v62, v45, v62
	v_add_f16_e32 v57, v85, v57
	v_fmac_f16_e32 v84, 0x33a8, v18
	v_bfi_b32 v5, 0xffff, v5, v60
	v_pk_add_f16 v0, v4, v0
	v_pk_fma_f16 v4, 0x3a95, v18, v14 op_sel:[0,0,1] op_sel_hi:[0,1,0] neg_lo:[0,1,0] neg_hi:[0,1,0]
	v_pk_mul_f16 v15, 0xb5ac, v24 op_sel_hi:[0,1]
	v_pk_add_f16 v2, v8, v2
	v_pk_fma_f16 v8, 0x3a95, v18, v14 op_sel:[0,0,1] op_sel_hi:[0,1,0]
	v_fmac_f16_e32 v77, 0xb94e, v20
	v_pk_mul_f16 v42, 0xb94e3770, v20
	v_bfi_b32 v11, 0xffff, v11, v47
	v_add_f16_e32 v62, v44, v62
	v_add_f16_e32 v57, v84, v57
	v_fmac_f16_e32 v86, 0x3770, v17
	v_pk_add_f16 v3, v5, v3
	v_pk_add_f16 v0, v4, v0
	v_pk_fma_f16 v4, 0xbb7b, v17, v15 op_sel:[0,0,1] op_sel_hi:[0,1,0] neg_lo:[0,1,0] neg_hi:[0,1,0]
	v_pk_mul_f16 v5, 0x2fb7, v25 op_sel_hi:[0,1]
	v_pk_add_f16 v2, v8, v2
	v_pk_fma_f16 v8, 0xbb7b, v17, v15 op_sel:[0,0,1] op_sel_hi:[0,1,0]
	v_add_f16_e32 v43, v77, v43
	v_pack_b32_f16 v14, v53, v54
	v_bfi_b32 v15, 0xffff, v56, v42
	v_pk_add_f16 v11, v68, v11 neg_lo:[0,1] neg_hi:[0,1]
	v_pk_add_f16 v16, v63, v47
	v_add_f16_e32 v62, v50, v62
	v_add_f16_e32 v57, v86, v57
	v_fmac_f16_e32 v88, 0xbb7b, v20
	v_pk_add_f16 v0, v4, v0
	v_pk_fma_f16 v4, 0x3bf1, v20, v5 op_sel:[0,0,1] op_sel_hi:[0,1,0] neg_lo:[0,1,0] neg_hi:[0,1,0]
	v_pk_add_f16 v2, v8, v2
	v_pk_fma_f16 v5, 0x3bf1, v20, v5 op_sel:[0,0,1] op_sel_hi:[0,1,0]
	v_alignbit_b32 v10, v43, v3, 16
	v_pack_b32_f16 v3, v7, v3
	v_pk_add_f16 v7, v14, v15
	v_bfi_b32 v8, 0xffff, v11, v16
	v_add_f16_e32 v62, v51, v62
	v_add_f16_e32 v57, v88, v57
	v_pk_add_f16 v0, v4, v0
	v_pk_add_f16 v2, v5, v2
	v_add_f16_e32 v59, v89, v59
	v_pk_add_f16 v4, v8, v7
	v_add_f16_e32 v62, v60, v62
	ds_write2_b32 v1, v3, v10 offset0:2 offset1:3
	v_pack_b32_f16 v3, v13, v57
	v_pack_b32_f16 v5, v6, v52
	v_alignbit_b32 v6, v0, v2, 16
	v_alignbit_b32 v0, v2, v0, 16
	v_pack_b32_f16 v2, v67, v66
	v_alignbit_b32 v7, v12, v4, 16
	v_pack_b32_f16 v4, v59, v4
	v_pack_b32_f16 v8, v55, v62
	v_perm_b32 v10, v35, v34, 0x5040100
	ds_write2_b32 v1, v5, v3 offset0:4 offset1:5
	ds_write2_b32 v1, v0, v6 offset0:6 offset1:7
	ds_write_b32 v1, v2 offset:32
	ds_write2_b32 v1, v4, v7 offset0:9 offset1:10
	ds_write2_b32 v1, v8, v10 offset0:11 offset1:12
.LBB0_7:
	s_or_b32 exec_lo, exec_lo, s0
	v_add_nc_u32_e32 v0, -13, v30
	v_cmp_gt_u16_e64 s0, 13, v30
	v_add_co_u32 v24, null, v30, 26
	v_add_nc_u16 v2, v30, 52
	s_load_dwordx4 s[20:23], s[8:9], 0x0
	v_cndmask_b32_e64 v23, v0, v30, s0
	v_and_b32_e32 v3, 0xff, v24
	s_waitcnt lgkmcnt(0)
	v_and_b32_e32 v4, 0xff, v2
	s_barrier
	v_mul_i32_i24_e32 v0, 12, v23
	v_mul_hi_i32_i24_e32 v1, 12, v23
	v_mul_lo_u16 v3, 0x4f, v3
	buffer_gl0_inv
	v_add_lshl_u32 v37, v31, v30, 2
	v_add_co_u32 v0, s0, s2, v0
	v_add_co_ci_u32_e64 v1, s0, s3, v1, s0
	v_lshrrev_b16 v25, 10, v3
	v_cmp_lt_u16_e64 s0, 12, v30
	v_mov_b32_e32 v41, 52
	global_load_dwordx3 v[6:8], v[0:1], off
	v_mul_lo_u16 v0, 0x4f, v4
	v_mul_lo_u16 v1, v25, 13
	v_cndmask_b32_e64 v39, 0, 52, s0
	v_add_nc_u32_e32 v14, 0x400, v37
	v_lshlrev_b32_e32 v44, 3, v30
	v_lshrrev_b16 v36, 10, v0
	v_sub_nc_u16 v0, v24, v1
	v_add_nc_u32_e32 v23, v23, v39
	v_lshlrev_b32_e32 v24, 3, v24
	v_mul_lo_u16 v1, v36, 13
	v_and_b32_e32 v38, 0xff, v0
	v_add_lshl_u32 v39, v31, v23, 2
	v_mul_u32_u24_sdwa v23, v25, v41 dst_sel:DWORD dst_unused:UNUSED_PAD src0_sel:WORD_0 src1_sel:DWORD
	v_mul_u32_u24_sdwa v25, v36, v41 dst_sel:DWORD dst_unused:UNUSED_PAD src0_sel:WORD_0 src1_sel:DWORD
	v_sub_nc_u16 v2, v2, v1
	v_mad_u64_u32 v[0:1], null, v38, 12, s[2:3]
	v_add_nc_u32_e32 v23, v23, v38
	v_and_b32_e32 v40, 0xff, v2
	v_add_lshl_u32 v41, v31, v23, 2
	v_mad_u64_u32 v[10:11], null, v40, 12, s[2:3]
	v_add_nc_u32_e32 v25, v25, v40
	s_clause 0x1
	global_load_dwordx3 v[3:5], v[0:1], off
	global_load_dwordx3 v[0:2], v[10:11], off
	ds_read2_b32 v[10:11], v37 offset1:26
	ds_read2_b32 v[12:13], v37 offset0:52 offset1:78
	ds_read2_b32 v[15:16], v37 offset0:156 offset1:182
	;; [unrolled: 1-line block ×5, first 2 shown]
	v_add_lshl_u32 v40, v31, v25, 2
	s_waitcnt vmcnt(0) lgkmcnt(0)
	s_barrier
	buffer_gl0_inv
	v_lshrrev_b32_e32 v36, 16, v10
	v_lshrrev_b32_e32 v42, 16, v13
	;; [unrolled: 1-line block ×12, first 2 shown]
	v_mul_f16_sdwa v23, v42, v6 dst_sel:DWORD dst_unused:UNUSED_PAD src0_sel:DWORD src1_sel:WORD_1
	v_mul_f16_sdwa v25, v13, v6 dst_sel:DWORD dst_unused:UNUSED_PAD src0_sel:DWORD src1_sel:WORD_1
	;; [unrolled: 1-line block ×6, first 2 shown]
	v_fma_f16 v13, v13, v6, -v23
	v_fmac_f16_e32 v25, v42, v6
	v_fma_f16 v15, v15, v7, -v53
	v_fmac_f16_e32 v54, v43, v7
	;; [unrolled: 2-line block ×3, first 2 shown]
	v_sub_f16_e32 v15, v10, v15
	v_sub_f16_e32 v23, v36, v54
	;; [unrolled: 1-line block ×4, first 2 shown]
	v_fma_f16 v10, v10, 2.0, -v15
	v_fma_f16 v36, v36, 2.0, -v23
	;; [unrolled: 1-line block ×4, first 2 shown]
	v_sub_f16_e32 v42, v15, v42
	v_add_f16_e32 v18, v23, v18
	v_sub_f16_e32 v13, v10, v13
	v_sub_f16_e32 v25, v36, v25
	v_fma_f16 v15, v15, 2.0, -v42
	v_fma_f16 v23, v23, 2.0, -v18
	v_pack_b32_f16 v18, v42, v18
	v_fma_f16 v10, v10, 2.0, -v13
	v_pack_b32_f16 v13, v13, v25
	v_mul_f16_sdwa v42, v47, v3 dst_sel:DWORD dst_unused:UNUSED_PAD src0_sel:DWORD src1_sel:WORD_1
	v_mul_f16_sdwa v43, v19, v3 dst_sel:DWORD dst_unused:UNUSED_PAD src0_sel:DWORD src1_sel:WORD_1
	;; [unrolled: 1-line block ×12, first 2 shown]
	v_fma_f16 v19, v19, v3, -v42
	v_fmac_f16_e32 v43, v47, v3
	v_fma_f16 v16, v16, v4, -v45
	v_fmac_f16_e32 v53, v48, v4
	;; [unrolled: 2-line block ×6, first 2 shown]
	v_fma_f16 v36, v36, 2.0, -v25
	ds_write2_b32 v39, v13, v18 offset0:26 offset1:39
	v_sub_f16_e32 v13, v11, v16
	v_sub_f16_e32 v16, v46, v53
	;; [unrolled: 1-line block ×4, first 2 shown]
	v_pack_b32_f16 v15, v15, v23
	v_sub_f16_e32 v17, v12, v17
	v_sub_f16_e32 v23, v49, v59
	;; [unrolled: 1-line block ×4, first 2 shown]
	v_pack_b32_f16 v10, v10, v36
	v_fma_f16 v11, v11, 2.0, -v13
	v_fma_f16 v36, v46, 2.0, -v16
	;; [unrolled: 1-line block ×8, first 2 shown]
	v_sub_f16_e32 v21, v13, v21
	v_add_f16_e32 v18, v16, v18
	v_sub_f16_e32 v25, v17, v25
	v_add_f16_e32 v22, v23, v22
	v_sub_f16_e32 v19, v11, v19
	v_sub_f16_e32 v38, v36, v38
	;; [unrolled: 1-line block ×4, first 2 shown]
	v_fma_f16 v13, v13, 2.0, -v21
	v_fma_f16 v16, v16, 2.0, -v18
	;; [unrolled: 1-line block ×3, first 2 shown]
	v_pack_b32_f16 v18, v21, v18
	v_pack_b32_f16 v21, v25, v22
	v_fma_f16 v11, v11, 2.0, -v19
	v_fma_f16 v22, v36, 2.0, -v38
	;; [unrolled: 1-line block ×5, first 2 shown]
	v_pack_b32_f16 v13, v13, v16
	v_pack_b32_f16 v16, v19, v38
	;; [unrolled: 1-line block ×6, first 2 shown]
	ds_write2_b32 v39, v10, v15 offset1:13
	ds_write2_b32 v41, v16, v18 offset0:26 offset1:39
	ds_write2_b32 v41, v11, v13 offset1:13
	ds_write2_b32 v40, v12, v17 offset1:13
	ds_write2_b32 v40, v19, v21 offset0:26 offset1:39
	s_waitcnt lgkmcnt(0)
	s_barrier
	buffer_gl0_inv
	s_clause 0x1
	global_load_dwordx2 v[12:13], v44, s[2:3] offset:156
	global_load_dwordx2 v[10:11], v24, s[2:3] offset:156
	ds_read2_b32 v[15:16], v37 offset1:26
	ds_read2_b32 v[17:18], v37 offset0:104 offset1:130
	ds_read2_b32 v[19:20], v37 offset0:208 offset1:234
	ds_read2_b32 v[21:22], v37 offset0:52 offset1:78
	ds_read2_b32 v[23:24], v37 offset0:156 offset1:182
	ds_read2_b32 v[42:43], v14 offset0:4 offset1:30
	v_lshlrev_b32_e32 v36, 2, v30
	v_add_co_u32 v25, s0, s2, v44
	v_add_co_ci_u32_e64 v38, null, s3, 0, s0
	s_waitcnt vmcnt(0) lgkmcnt(0)
	v_sub_co_u32 v48, s0, v25, v36
	v_subrev_co_ci_u32_e64 v49, s0, 0, v38, s0
	s_barrier
	buffer_gl0_inv
	v_lshrrev_b32_e32 v25, 16, v15
	v_lshrrev_b32_e32 v38, 16, v17
	;; [unrolled: 1-line block ×12, first 2 shown]
	v_mul_f16_sdwa v56, v38, v12 dst_sel:DWORD dst_unused:UNUSED_PAD src0_sel:DWORD src1_sel:WORD_1
	v_mul_f16_sdwa v57, v17, v12 dst_sel:DWORD dst_unused:UNUSED_PAD src0_sel:DWORD src1_sel:WORD_1
	;; [unrolled: 1-line block ×16, first 2 shown]
	v_fma_f16 v17, v17, v12, -v56
	v_fmac_f16_e32 v57, v38, v12
	v_fma_f16 v19, v19, v13, -v58
	v_fmac_f16_e32 v59, v44, v13
	;; [unrolled: 2-line block ×8, first 2 shown]
	v_add_f16_e32 v44, v17, v19
	v_sub_f16_e32 v46, v57, v59
	v_add_f16_e32 v47, v25, v57
	v_add_f16_e32 v51, v57, v59
	v_add_f16_e32 v54, v18, v20
	v_add_f16_e32 v57, v61, v63
	v_add_f16_e32 v43, v15, v17
	v_add_f16_e32 v52, v16, v18
	v_add_f16_e32 v56, v45, v61
	v_add_f16_e32 v60, v23, v38
	v_add_f16_e32 v64, v65, v67
	v_add_f16_e32 v66, v24, v42
	v_sub_f16_e32 v68, v69, v71
	v_add_f16_e32 v70, v53, v69
	v_add_f16_e32 v69, v69, v71
	v_sub_f16_e32 v55, v61, v63
	v_add_f16_e32 v58, v21, v23
	v_sub_f16_e32 v61, v65, v67
	v_add_f16_e32 v62, v50, v65
	v_add_f16_e32 v65, v22, v24
	v_sub_f16_e32 v17, v17, v19
	v_sub_f16_e32 v18, v18, v20
	v_fma_f16 v15, -0.5, v44, v15
	v_fmac_f16_e32 v25, -0.5, v51
	v_fmac_f16_e32 v16, -0.5, v54
	v_fmac_f16_e32 v45, -0.5, v57
	v_sub_f16_e32 v23, v23, v38
	v_sub_f16_e32 v24, v24, v42
	v_add_f16_e32 v19, v43, v19
	v_add_f16_e32 v43, v47, v59
	;; [unrolled: 1-line block ×4, first 2 shown]
	v_fma_f16 v21, -0.5, v60, v21
	v_fmac_f16_e32 v50, -0.5, v64
	v_fmac_f16_e32 v22, -0.5, v66
	;; [unrolled: 1-line block ×3, first 2 shown]
	v_add_f16_e32 v38, v58, v38
	v_add_f16_e32 v47, v62, v67
	;; [unrolled: 1-line block ×4, first 2 shown]
	v_fmamk_f16 v52, v46, 0x3aee, v15
	v_fmac_f16_e32 v15, 0xbaee, v46
	v_fmamk_f16 v46, v17, 0xbaee, v25
	v_fmac_f16_e32 v25, 0x3aee, v17
	v_fmamk_f16 v17, v55, 0x3aee, v16
	v_fmamk_f16 v54, v18, 0xbaee, v45
	v_fmac_f16_e32 v16, 0xbaee, v55
	v_fmac_f16_e32 v45, 0x3aee, v18
	v_fmamk_f16 v18, v61, 0x3aee, v21
	v_fmamk_f16 v55, v23, 0xbaee, v50
	v_fmac_f16_e32 v50, 0x3aee, v23
	v_fmamk_f16 v23, v68, 0x3aee, v22
	v_fmamk_f16 v56, v24, 0xbaee, v53
	v_pack_b32_f16 v19, v19, v43
	v_pack_b32_f16 v20, v20, v44
	v_fmac_f16_e32 v21, 0xbaee, v61
	v_fmac_f16_e32 v22, 0xbaee, v68
	;; [unrolled: 1-line block ×3, first 2 shown]
	v_pack_b32_f16 v24, v38, v47
	v_pack_b32_f16 v38, v42, v51
	;; [unrolled: 1-line block ×6, first 2 shown]
	ds_write2_b32 v37, v19, v20 offset1:26
	v_pack_b32_f16 v18, v18, v55
	v_pack_b32_f16 v20, v23, v56
	;; [unrolled: 1-line block ×4, first 2 shown]
	ds_write2_b32 v37, v24, v38 offset0:156 offset1:182
	ds_write2_b32 v37, v42, v17 offset0:52 offset1:78
	;; [unrolled: 1-line block ×5, first 2 shown]
	s_waitcnt lgkmcnt(0)
	s_barrier
	buffer_gl0_inv
	s_clause 0x5
	global_load_dword v47, v[48:49], off offset:572
	global_load_dword v43, v[48:49], off offset:676
	;; [unrolled: 1-line block ×6, first 2 shown]
	ds_read2_b32 v[52:53], v37 offset1:26
	ds_read2_b32 v[15:16], v37 offset0:156 offset1:182
	ds_read2_b32 v[62:63], v37 offset0:52 offset1:78
	;; [unrolled: 1-line block ×5, first 2 shown]
	v_lshl_add_u32 v38, v30, 2, v32
	v_add_nc_u32_e32 v48, v36, v32
	s_waitcnt lgkmcnt(5)
	v_lshrrev_b32_e32 v22, 16, v52
	s_waitcnt lgkmcnt(4)
	v_lshrrev_b32_e32 v14, 16, v15
	v_lshrrev_b32_e32 v21, 16, v16
	s_waitcnt lgkmcnt(2)
	v_lshrrev_b32_e32 v23, 16, v17
	;; [unrolled: 3-line block ×3, first 2 shown]
	v_lshrrev_b32_e32 v51, 16, v20
	v_lshrrev_b32_e32 v24, 16, v53
	;; [unrolled: 1-line block ×6, first 2 shown]
	s_waitcnt vmcnt(5)
	v_mul_f16_sdwa v55, v14, v47 dst_sel:DWORD dst_unused:UNUSED_PAD src0_sel:DWORD src1_sel:WORD_1
	v_mul_f16_sdwa v56, v15, v47 dst_sel:DWORD dst_unused:UNUSED_PAD src0_sel:DWORD src1_sel:WORD_1
	s_waitcnt vmcnt(4)
	v_mul_f16_sdwa v57, v21, v43 dst_sel:DWORD dst_unused:UNUSED_PAD src0_sel:DWORD src1_sel:WORD_1
	v_mul_f16_sdwa v58, v16, v43 dst_sel:DWORD dst_unused:UNUSED_PAD src0_sel:DWORD src1_sel:WORD_1
	;; [unrolled: 3-line block ×6, first 2 shown]
	v_fma_f16 v15, v15, v47, -v55
	v_fmac_f16_e32 v56, v14, v47
	v_fma_f16 v14, v16, v43, -v57
	v_fmac_f16_e32 v58, v21, v43
	;; [unrolled: 2-line block ×6, first 2 shown]
	v_sub_f16_e32 v15, v52, v15
	v_sub_f16_e32 v59, v22, v56
	;; [unrolled: 1-line block ×12, first 2 shown]
	v_fma_f16 v14, v52, 2.0, -v15
	v_fma_f16 v52, v22, 2.0, -v59
	;; [unrolled: 1-line block ×8, first 2 shown]
	v_pack_b32_f16 v49, v15, v59
	v_pack_b32_f16 v62, v23, v57
	v_fma_f16 v18, v64, 2.0, -v19
	v_fma_f16 v54, v66, 2.0, -v51
	;; [unrolled: 1-line block ×4, first 2 shown]
	v_pack_b32_f16 v63, v21, v56
	v_pack_b32_f16 v64, v25, v55
	;; [unrolled: 1-line block ×4, first 2 shown]
	ds_write2_b32 v38, v49, v62 offset0:156 offset1:182
	v_pack_b32_f16 v49, v20, v60
	v_pack_b32_f16 v62, v24, v58
	;; [unrolled: 1-line block ×4, first 2 shown]
	ds_write2_b32 v38, v63, v64 offset0:208 offset1:234
	v_pack_b32_f16 v63, v16, v53
	v_pack_b32_f16 v66, v17, v50
	ds_write2_b32 v38, v67, v68 offset1:26
	ds_write2_b32 v38, v49, v62 offset0:52 offset1:78
	ds_write_b32 v38, v69 offset:416
	ds_write_b32 v48, v65 offset:1040
	;; [unrolled: 1-line block ×4, first 2 shown]
	s_waitcnt lgkmcnt(0)
	s_barrier
	buffer_gl0_inv
	s_and_saveexec_b32 s2, vcc_lo
	s_cbranch_execz .LBB0_9
; %bb.8:
	s_add_u32 s0, s24, 0x4e0
	s_addc_u32 s1, s25, 0
	s_clause 0xc
	global_load_dword v49, v28, s[24:25] offset:1248
	global_load_dword v74, v28, s[0:1] offset:96
	;; [unrolled: 1-line block ×13, first 2 shown]
	v_add_nc_u32_e32 v86, 0x200, v38
	ds_read2_b32 v[62:63], v38 offset1:24
	ds_read2_b32 v[64:65], v38 offset0:48 offset1:72
	ds_read2_b32 v[66:67], v38 offset0:96 offset1:120
	;; [unrolled: 1-line block ×4, first 2 shown]
	ds_read_b32 v87, v38 offset:1152
	ds_read2_b32 v[72:73], v86 offset0:112 offset1:136
	s_waitcnt lgkmcnt(6)
	v_lshrrev_b32_e32 v88, 16, v62
	v_lshrrev_b32_e32 v89, 16, v63
	s_waitcnt lgkmcnt(5)
	v_lshrrev_b32_e32 v90, 16, v64
	v_lshrrev_b32_e32 v91, 16, v65
	;; [unrolled: 3-line block ×5, first 2 shown]
	s_waitcnt lgkmcnt(1)
	v_lshrrev_b32_e32 v98, 16, v87
	s_waitcnt lgkmcnt(0)
	v_lshrrev_b32_e32 v99, 16, v72
	v_lshrrev_b32_e32 v100, 16, v73
	s_waitcnt vmcnt(12)
	v_mul_f16_sdwa v101, v88, v49 dst_sel:DWORD dst_unused:UNUSED_PAD src0_sel:DWORD src1_sel:WORD_1
	v_mul_f16_sdwa v102, v62, v49 dst_sel:DWORD dst_unused:UNUSED_PAD src0_sel:DWORD src1_sel:WORD_1
	s_waitcnt vmcnt(11)
	v_mul_f16_sdwa v103, v89, v74 dst_sel:DWORD dst_unused:UNUSED_PAD src0_sel:DWORD src1_sel:WORD_1
	v_mul_f16_sdwa v104, v63, v74 dst_sel:DWORD dst_unused:UNUSED_PAD src0_sel:DWORD src1_sel:WORD_1
	;; [unrolled: 3-line block ×13, first 2 shown]
	v_fma_f16 v62, v62, v49, -v101
	v_fmac_f16_e32 v102, v88, v49
	v_fma_f16 v49, v63, v74, -v103
	v_fmac_f16_e32 v104, v89, v74
	;; [unrolled: 2-line block ×13, first 2 shown]
	v_pack_b32_f16 v62, v62, v102
	v_pack_b32_f16 v49, v49, v104
	v_pack_b32_f16 v63, v63, v106
	v_pack_b32_f16 v64, v64, v108
	v_pack_b32_f16 v65, v65, v110
	v_pack_b32_f16 v66, v66, v112
	v_pack_b32_f16 v67, v67, v114
	v_pack_b32_f16 v68, v68, v116
	v_pack_b32_f16 v69, v69, v118
	v_pack_b32_f16 v70, v70, v120
	v_pack_b32_f16 v71, v71, v122
	v_pack_b32_f16 v72, v72, v124
	v_pack_b32_f16 v73, v73, v126
	ds_write2_b32 v38, v62, v49 offset1:24
	ds_write2_b32 v38, v63, v64 offset0:48 offset1:72
	ds_write2_b32 v38, v65, v66 offset0:96 offset1:120
	;; [unrolled: 1-line block ×5, first 2 shown]
	ds_write_b32 v38, v73 offset:1152
.LBB0_9:
	s_or_b32 exec_lo, exec_lo, s2
	s_waitcnt lgkmcnt(0)
	s_barrier
	buffer_gl0_inv
	s_and_saveexec_b32 s0, vcc_lo
	s_cbranch_execz .LBB0_11
; %bb.10:
	v_add_nc_u32_e32 v16, 0x200, v38
	ds_read2_b32 v[14:15], v38 offset1:24
	ds_read2_b32 v[22:23], v38 offset0:48 offset1:72
	ds_read2_b32 v[20:21], v38 offset0:96 offset1:120
	;; [unrolled: 1-line block ×5, first 2 shown]
	ds_read_b32 v34, v38 offset:1152
	s_waitcnt lgkmcnt(6)
	v_lshrrev_b32_e32 v52, 16, v14
	v_lshrrev_b32_e32 v59, 16, v15
	s_waitcnt lgkmcnt(5)
	v_lshrrev_b32_e32 v61, 16, v22
	v_lshrrev_b32_e32 v57, 16, v23
	;; [unrolled: 3-line block ×6, first 2 shown]
	s_waitcnt lgkmcnt(0)
	v_lshrrev_b32_e32 v35, 16, v34
.LBB0_11:
	s_or_b32 exec_lo, exec_lo, s0
	v_add_nc_u32_e32 v49, 0x1a0, v48
	v_add_nc_u32_e32 v48, 0x208, v48
	s_barrier
	buffer_gl0_inv
	s_and_saveexec_b32 s0, vcc_lo
	s_cbranch_execz .LBB0_13
; %bb.12:
	v_sub_f16_e32 v66, v15, v34
	v_add_f16_e32 v86, v35, v59
	v_sub_f16_e32 v64, v22, v17
	v_add_f16_e32 v85, v50, v61
	v_sub_f16_e32 v62, v23, v16
	v_mul_f16_e32 v92, 0xba95, v66
	v_add_f16_e32 v84, v53, v57
	v_mul_f16_e32 v93, 0xbb7b, v64
	v_sub_f16_e32 v63, v20, v19
	v_mul_f16_e32 v94, 0xb3a8, v62
	v_fmamk_f16 v67, v86, 0x388b, v92
	v_add_f16_e32 v83, v51, v60
	v_fmamk_f16 v68, v85, 0xb5ac, v93
	v_sub_f16_e32 v65, v21, v18
	v_sub_f16_e32 v89, v59, v35
	v_add_f16_e32 v67, v52, v67
	v_mul_f16_e32 v95, 0x394e, v63
	v_fmamk_f16 v70, v84, 0xbbc4, v94
	v_add_f16_e32 v76, v54, v56
	v_add_f16_e32 v69, v34, v15
	v_add_f16_e32 v67, v68, v67
	v_sub_f16_e32 v80, v61, v50
	v_mul_f16_e32 v91, 0x3bf1, v65
	v_mul_f16_e32 v96, 0xba95, v89
	v_fmamk_f16 v68, v83, 0xb9fd, v95
	v_add_f16_e32 v67, v70, v67
	v_add_f16_e32 v70, v17, v22
	v_mul_f16_e32 v97, 0xbb7b, v80
	v_fmamk_f16 v71, v76, 0x2fb7, v91
	v_fma_f16 v72, v69, 0x388b, -v96
	v_add_f16_e32 v68, v68, v67
	v_sub_f16_e32 v79, v57, v53
	v_sub_f16_e32 v67, v24, v25
	v_fma_f16 v73, v70, 0xb5ac, -v97
	v_add_f16_e32 v72, v14, v72
	v_add_f16_e32 v68, v71, v68
	v_add_f16_e32 v71, v16, v23
	v_mul_f16_e32 v98, 0xb3a8, v79
	v_sub_f16_e32 v81, v60, v51
	v_mul_f16_e32 v99, 0x3770, v67
	v_add_f16_e32 v78, v55, v58
	v_add_f16_e32 v73, v73, v72
	v_fma_f16 v74, v71, 0xbbc4, -v98
	v_add_f16_e32 v72, v19, v20
	v_mul_f16_e32 v100, 0x394e, v81
	v_fmamk_f16 v75, v78, 0x3b15, v99
	v_mul_f16_e32 v101, 0xbbf1, v66
	v_add_f16_e32 v73, v74, v73
	v_mul_f16_e32 v103, 0xb3a8, v64
	v_fma_f16 v77, v72, 0xb9fd, -v100
	v_add_f16_e32 v68, v75, v68
	v_mul_f16_e32 v105, 0x3b7b, v62
	v_mul_f16_e32 v107, 0x3770, v63
	v_fmamk_f16 v90, v85, 0xbbc4, v103
	v_add_f16_e32 v75, v77, v73
	v_fmamk_f16 v77, v86, 0x2fb7, v101
	v_sub_f16_e32 v82, v56, v54
	v_mul_f16_e32 v109, 0xba95, v65
	v_add_f16_e32 v74, v18, v21
	v_sub_f16_e32 v87, v58, v55
	v_add_f16_e32 v77, v52, v77
	v_mul_f16_e32 v102, 0x3bf1, v82
	v_mul_f16_e32 v112, 0xb94e, v67
	v_add_f16_e32 v73, v25, v24
	v_mul_f16_e32 v104, 0x3770, v87
	v_add_f16_e32 v77, v90, v77
	v_fmamk_f16 v90, v84, 0xb5ac, v105
	v_fma_f16 v88, v74, 0x2fb7, -v102
	v_mul_f16_e32 v114, 0xbb7b, v66
	v_mul_f16_e32 v106, 0xbbf1, v89
	;; [unrolled: 1-line block ×3, first 2 shown]
	v_add_f16_e32 v77, v90, v77
	v_fmamk_f16 v90, v83, 0x3b15, v107
	v_add_f16_e32 v75, v88, v75
	v_fma_f16 v88, v73, 0x3b15, -v104
	v_mul_f16_e32 v108, 0xb3a8, v80
	v_fmamk_f16 v118, v85, 0xb9fd, v116
	v_add_f16_e32 v77, v90, v77
	v_fmamk_f16 v90, v76, 0x388b, v109
	v_add_f16_e32 v75, v88, v75
	v_fma_f16 v88, v69, 0x2fb7, -v106
	v_mul_f16_e32 v119, 0x3770, v62
	v_fma_f16 v110, v70, 0xbbc4, -v108
	v_add_f16_e32 v77, v90, v77
	v_fmamk_f16 v90, v78, 0xb9fd, v112
	v_add_f16_e32 v88, v14, v88
	v_mul_f16_e32 v111, 0x3b7b, v79
	v_mul_f16_e32 v121, 0xbbf1, v63
	;; [unrolled: 1-line block ×3, first 2 shown]
	v_add_f16_e32 v77, v90, v77
	v_fmamk_f16 v90, v86, 0xb5ac, v114
	v_add_f16_e32 v88, v110, v88
	v_fma_f16 v110, v71, 0xb5ac, -v111
	v_mul_f16_e32 v123, 0x33a8, v65
	v_mul_f16_e32 v115, 0xba95, v82
	v_add_f16_e32 v90, v52, v90
	v_mul_f16_e32 v126, 0x3a95, v67
	v_add_f16_e32 v88, v110, v88
	v_fma_f16 v110, v72, 0x3b15, -v113
	v_mul_f16_e32 v117, 0xb94e, v87
	v_add_f16_e32 v90, v118, v90
	v_fmamk_f16 v118, v84, 0x3b15, v119
	v_mul_f16_e32 v128, 0xb94e, v66
	v_add_f16_e32 v88, v110, v88
	v_fma_f16 v110, v74, 0x388b, -v115
	v_mul_f16_e32 v120, 0xbb7b, v89
	v_add_f16_e32 v90, v118, v90
	v_fmamk_f16 v118, v83, 0x2fb7, v121
	;; [unrolled: 6-line block ×3, first 2 shown]
	v_fmamk_f16 v132, v85, 0x2fb7, v130
	v_add_f16_e32 v88, v110, v88
	v_fma_f16 v110, v69, 0xb5ac, -v120
	v_mul_f16_e32 v133, 0xba95, v62
	v_add_f16_e32 v90, v118, v90
	v_fmamk_f16 v118, v78, 0x388b, v126
	v_fma_f16 v124, v70, 0xb9fd, -v122
	v_add_f16_e32 v110, v14, v110
	v_mul_f16_e32 v125, 0x3770, v79
	v_mul_f16_e32 v135, 0x33a8, v63
	v_add_f16_e32 v90, v118, v90
	v_fmamk_f16 v118, v86, 0xb9fd, v128
	v_add_f16_e32 v110, v124, v110
	v_fma_f16 v124, v71, 0x3b15, -v125
	v_mul_f16_e32 v127, 0xbbf1, v81
	v_mul_f16_e32 v137, 0x3770, v65
	v_add_f16_e32 v118, v52, v118
	v_fma_f16 v92, v86, 0x388b, -v92
	v_add_f16_e32 v110, v124, v110
	v_fma_f16 v124, v72, 0x2fb7, -v127
	v_mul_f16_e32 v129, 0x33a8, v82
	v_add_f16_e32 v118, v132, v118
	v_fmamk_f16 v132, v84, 0x388b, v133
	v_mul_f16_e32 v140, 0xbb7b, v67
	v_add_f16_e32 v92, v52, v92
	v_fma_f16 v93, v85, 0xb5ac, -v93
	v_add_f16_e32 v110, v124, v110
	v_add_f16_e32 v118, v132, v118
	v_fmamk_f16 v132, v83, 0xbbc4, v135
	v_fma_f16 v124, v74, 0xbbc4, -v129
	v_mul_f16_e32 v131, 0x3a95, v87
	v_mul_f16_e32 v142, 0xb3a8, v66
	v_add_f16_e32 v92, v93, v92
	v_add_f16_e32 v118, v132, v118
	v_fmamk_f16 v132, v76, 0x3b15, v137
	v_fma_f16 v93, v84, 0xbbc4, -v94
	v_add_f16_e32 v110, v124, v110
	v_fma_f16 v124, v73, 0x388b, -v131
	v_mul_f16_e32 v134, 0xb94e, v89
	v_add_f16_e32 v118, v132, v118
	v_fmamk_f16 v132, v78, 0xb5ac, v140
	v_mul_f16_e32 v144, 0x3770, v64
	v_fma_f16 v128, v86, 0xb9fd, -v128
	v_fma_f16 v114, v86, 0xb5ac, -v114
	;; [unrolled: 1-line block ×3, first 2 shown]
	v_add_f16_e32 v118, v132, v118
	v_fmamk_f16 v132, v86, 0xbbc4, v142
	v_fma_f16 v142, v86, 0xbbc4, -v142
	v_add_f16_e32 v92, v93, v92
	v_fma_f16 v93, v83, 0xb9fd, -v95
	v_mul_f16_e32 v86, 0x3b15, v86
	v_add_f16_e32 v110, v124, v110
	v_fma_f16 v124, v69, 0xb9fd, -v134
	v_mul_f16_e32 v136, 0x3bf1, v80
	v_add_f16_e32 v132, v52, v132
	v_fmamk_f16 v146, v85, 0x3b15, v144
	v_mul_f16_e32 v147, 0xb94e, v62
	v_add_f16_e32 v142, v52, v142
	v_fma_f16 v144, v85, 0x3b15, -v144
	v_add_f16_e32 v128, v52, v128
	v_fma_f16 v130, v85, 0x2fb7, -v130
	v_add_f16_e32 v114, v52, v114
	v_fma_f16 v116, v85, 0xb9fd, -v116
	v_add_f16_e32 v101, v52, v101
	v_fma_f16 v103, v85, 0xbbc4, -v103
	v_fmac_f16_e32 v96, 0x388b, v69
	v_add_f16_e32 v92, v93, v92
	v_fma_f16 v91, v76, 0x2fb7, -v91
	v_fmamk_f16 v93, v66, 0x3770, v86
	v_mul_f16_e32 v85, 0x388b, v85
	v_add_f16_e32 v124, v14, v124
	v_fma_f16 v138, v70, 0x2fb7, -v136
	v_mul_f16_e32 v139, 0xba95, v79
	v_add_f16_e32 v132, v146, v132
	v_fmamk_f16 v146, v84, 0xb9fd, v147
	v_mul_f16_e32 v149, 0x3a95, v63
	v_add_f16_e32 v142, v144, v142
	v_fma_f16 v144, v84, 0xb9fd, -v147
	v_add_f16_e32 v128, v130, v128
	v_fma_f16 v130, v84, 0x388b, -v133
	;; [unrolled: 2-line block ×4, first 2 shown]
	v_add_f16_e32 v96, v14, v96
	v_fmac_f16_e32 v97, 0xb5ac, v70
	v_add_f16_e32 v91, v91, v92
	v_add_f16_e32 v92, v52, v93
	v_fmamk_f16 v93, v64, 0x3a95, v85
	v_mul_f16_e32 v84, 0x2fb7, v84
	v_add_f16_e32 v15, v15, v14
	v_add_f16_e32 v124, v138, v124
	v_fma_f16 v138, v71, 0x388b, -v139
	v_mul_f16_e32 v141, 0x33a8, v81
	v_mul_f16_e32 v148, 0xb3a8, v89
	v_add_f16_e32 v132, v146, v132
	v_fmamk_f16 v146, v83, 0x388b, v149
	v_add_f16_e32 v142, v144, v142
	v_fma_f16 v144, v83, 0x388b, -v149
	v_add_f16_e32 v128, v130, v128
	v_fma_f16 v130, v83, 0xbbc4, -v135
	;; [unrolled: 2-line block ×5, first 2 shown]
	v_add_f16_e32 v92, v93, v92
	v_fmamk_f16 v93, v62, 0x3bf1, v84
	v_mul_f16_e32 v83, 0xb5ac, v83
	v_mul_f16_e32 v89, 0xb770, v89
	v_add_f16_e32 v15, v22, v15
	v_add_f16_e32 v22, v59, v52
	;; [unrolled: 1-line block ×3, first 2 shown]
	v_fma_f16 v138, v72, 0xbbc4, -v141
	v_mul_f16_e32 v143, 0x3770, v82
	v_mul_f16_e32 v150, 0x3770, v80
	v_add_f16_e32 v92, v93, v92
	v_fmamk_f16 v93, v63, 0x3b7b, v83
	v_add_f16_e32 v91, v96, v91
	v_fmamk_f16 v96, v69, 0x3b15, v89
	v_mul_f16_e32 v80, 0xba95, v80
	v_add_f16_e32 v15, v23, v15
	v_add_f16_e32 v22, v61, v22
	;; [unrolled: 1-line block ×3, first 2 shown]
	v_fma_f16 v138, v74, 0x3b15, -v143
	v_mul_f16_e32 v145, 0xbb7b, v87
	v_mul_f16_e32 v153, 0xb94e, v79
	v_add_f16_e32 v92, v93, v92
	v_add_f16_e32 v93, v14, v96
	v_fmamk_f16 v59, v70, 0x388b, v80
	v_mul_f16_e32 v79, 0xbbf1, v79
	v_add_f16_e32 v15, v20, v15
	v_add_f16_e32 v20, v57, v22
	;; [unrolled: 1-line block ×3, first 2 shown]
	v_fma_f16 v138, v73, 0xb5ac, -v145
	v_add_f16_e32 v23, v59, v93
	v_fmamk_f16 v59, v71, 0x2fb7, v79
	v_mul_f16_e32 v61, 0xbb7b, v81
	v_add_f16_e32 v15, v21, v15
	v_add_f16_e32 v20, v60, v20
	;; [unrolled: 1-line block ×3, first 2 shown]
	v_fma_f16 v138, v69, 0xbbc4, -v148
	v_mul_f16_e32 v151, 0xbb7b, v65
	v_add_f16_e32 v23, v59, v23
	v_fmamk_f16 v57, v72, 0xb5ac, v61
	v_mul_f16_e32 v21, 0xb94e, v82
	v_add_f16_e32 v15, v24, v15
	v_add_f16_e32 v20, v56, v20
	;; [unrolled: 1-line block ×3, first 2 shown]
	v_fma_f16 v152, v70, 0x3b15, -v150
	v_add_f16_e32 v132, v146, v132
	v_fmamk_f16 v146, v76, 0xb5ac, v151
	v_mul_f16_e32 v154, 0x3bf1, v67
	v_add_f16_e32 v23, v57, v23
	v_fmamk_f16 v24, v74, 0xb9fd, v21
	v_mul_f16_e32 v56, 0xb3a8, v87
	v_add_f16_e32 v15, v25, v15
	v_add_f16_e32 v20, v58, v20
	;; [unrolled: 1-line block ×3, first 2 shown]
	v_fma_f16 v152, v71, 0xb9fd, -v153
	v_mul_f16_e32 v155, 0x3a95, v81
	v_add_f16_e32 v132, v146, v132
	v_fmamk_f16 v146, v78, 0x2fb7, v154
	v_fmac_f16_e32 v106, 0x2fb7, v69
	v_add_f16_e32 v23, v24, v23
	v_fmamk_f16 v24, v73, 0xbbc4, v56
	v_fmac_f16_e32 v134, 0xb9fd, v69
	v_fmac_f16_e32 v120, 0xb5ac, v69
	v_add_f16_e32 v15, v18, v15
	v_add_f16_e32 v18, v55, v20
	;; [unrolled: 1-line block ×3, first 2 shown]
	v_fma_f16 v152, v72, 0x388b, -v155
	v_add_f16_e32 v132, v146, v132
	v_mul_f16_e32 v146, 0xbb7b, v82
	v_fmac_f16_e32 v148, 0xbbc4, v69
	v_add_f16_e32 v106, v14, v106
	v_fmac_f16_e32 v108, 0xbbc4, v70
	v_fmac_f16_e32 v86, 0xb770, v66
	v_add_f16_e32 v20, v24, v23
	v_fma_f16 v23, v69, 0x3b15, -v89
	v_add_f16_e32 v134, v14, v134
	v_fmac_f16_e32 v136, 0x2fb7, v70
	v_add_f16_e32 v120, v14, v120
	v_fmac_f16_e32 v122, 0xb9fd, v70
	v_add_f16_e32 v15, v19, v15
	v_add_f16_e32 v18, v54, v18
	;; [unrolled: 1-line block ×3, first 2 shown]
	v_fma_f16 v147, v74, 0xb5ac, -v146
	v_mul_f16_e32 v152, 0x3bf1, v87
	v_add_f16_e32 v148, v14, v148
	v_fmac_f16_e32 v150, 0x3b15, v70
	v_add_f16_e32 v106, v108, v106
	v_fmac_f16_e32 v111, 0xb5ac, v71
	v_fmac_f16_e32 v98, 0xbbc4, v71
	v_add_f16_e32 v19, v52, v86
	v_fmac_f16_e32 v85, 0xba95, v64
	v_add_f16_e32 v14, v14, v23
	v_fma_f16 v23, v70, 0x388b, -v80
	v_add_f16_e32 v142, v144, v142
	v_fma_f16 v144, v76, 0xb5ac, -v151
	v_add_f16_e32 v134, v136, v134
	v_fmac_f16_e32 v139, 0x388b, v71
	v_add_f16_e32 v128, v130, v128
	v_fma_f16 v130, v76, 0x3b15, -v137
	v_add_f16_e32 v114, v116, v114
	v_fma_f16 v116, v76, 0xbbc4, -v123
	v_add_f16_e32 v120, v122, v120
	v_fmac_f16_e32 v125, 0x3b15, v71
	v_add_f16_e32 v101, v103, v101
	v_fma_f16 v103, v76, 0x388b, -v109
	v_mul_f16_e32 v76, 0xb9fd, v76
	v_add_f16_e32 v15, v16, v15
	v_add_f16_e32 v16, v51, v18
	;; [unrolled: 1-line block ×3, first 2 shown]
	v_fma_f16 v147, v73, 0x2fb7, -v152
	v_add_f16_e32 v148, v150, v148
	v_fmac_f16_e32 v153, 0xb9fd, v71
	v_add_f16_e32 v106, v111, v106
	v_fmac_f16_e32 v113, 0x3b15, v72
	;; [unrolled: 2-line block ×4, first 2 shown]
	v_add_f16_e32 v14, v23, v14
	v_fma_f16 v19, v71, 0x2fb7, -v79
	v_add_f16_e32 v134, v139, v134
	v_fmac_f16_e32 v141, 0xbbc4, v72
	v_add_f16_e32 v114, v116, v114
	v_add_f16_e32 v116, v125, v120
	v_fmac_f16_e32 v127, 0x2fb7, v72
	v_fmamk_f16 v96, v65, 0x394e, v76
	v_mul_f16_e32 v59, 0xbbc4, v78
	v_add_f16_e32 v16, v53, v16
	v_add_f16_e32 v138, v147, v138
	;; [unrolled: 1-line block ×3, first 2 shown]
	v_fmac_f16_e32 v155, 0x388b, v72
	v_add_f16_e32 v106, v113, v106
	v_fmac_f16_e32 v115, 0x388b, v74
	v_add_f16_e32 v95, v100, v95
	;; [unrolled: 2-line block ×3, first 2 shown]
	v_add_f16_e32 v17, v84, v18
	v_fmac_f16_e32 v83, 0xbb7b, v63
	v_add_f16_e32 v14, v19, v14
	v_fma_f16 v18, v72, 0xb5ac, -v61
	v_add_f16_e32 v119, v141, v134
	v_fmac_f16_e32 v143, 0x3b15, v74
	v_add_f16_e32 v105, v127, v116
	v_fmac_f16_e32 v129, 0xbbc4, v74
	v_add_f16_e32 v22, v96, v92
	v_fmamk_f16 v57, v67, 0x33a8, v59
	v_add_f16_e32 v16, v50, v16
	v_add_f16_e32 v147, v155, v147
	v_fmac_f16_e32 v146, 0xb5ac, v74
	v_add_f16_e32 v101, v103, v101
	v_fma_f16 v103, v78, 0xb9fd, -v112
	v_add_f16_e32 v94, v115, v106
	v_fmac_f16_e32 v117, 0xb9fd, v73
	v_add_f16_e32 v95, v102, v95
	v_fmac_f16_e32 v104, 0x3b15, v73
	v_add_f16_e32 v17, v83, v17
	v_fmac_f16_e32 v76, 0xb94e, v65
	v_add_f16_e32 v14, v18, v14
	v_fma_f16 v18, v74, 0xb9fd, -v21
	v_add_f16_e32 v128, v130, v128
	v_fma_f16 v130, v78, 0xb5ac, -v140
	v_add_f16_e32 v119, v143, v119
	v_fmac_f16_e32 v145, 0xb5ac, v73
	v_fma_f16 v120, v78, 0x388b, -v126
	v_add_f16_e32 v105, v129, v105
	v_fmac_f16_e32 v131, 0x388b, v73
	v_add_f16_e32 v22, v57, v22
	v_add_f16_e32 v15, v34, v15
	;; [unrolled: 1-line block ×3, first 2 shown]
	v_and_b32_e32 v19, 0xffff, v33
	v_add_f16_e32 v142, v144, v142
	v_fma_f16 v144, v78, 0x2fb7, -v154
	v_add_f16_e32 v133, v146, v147
	v_fmac_f16_e32 v152, 0x2fb7, v73
	v_add_f16_e32 v101, v103, v101
	v_add_f16_e32 v94, v117, v94
	;; [unrolled: 1-line block ×4, first 2 shown]
	v_fmac_f16_e32 v59, 0xb3a8, v67
	v_add_f16_e32 v14, v18, v14
	v_fma_f16 v18, v73, 0xbbc4, -v56
	v_add_f16_e32 v128, v130, v128
	v_add_f16_e32 v119, v145, v119
	;; [unrolled: 1-line block ×3, first 2 shown]
	v_lshl_add_u32 v19, v19, 2, v32
	v_pack_b32_f16 v20, v20, v22
	v_pack_b32_f16 v15, v15, v16
	v_add_f16_e32 v22, v131, v105
	v_add_f16_e32 v142, v144, v142
	;; [unrolled: 1-line block ×3, first 2 shown]
	v_pack_b32_f16 v16, v94, v101
	v_pack_b32_f16 v21, v95, v91
	v_add_f16_e32 v17, v59, v17
	v_add_f16_e32 v14, v18, v14
	ds_write2_b32 v19, v15, v20 offset1:1
	ds_write2_b32 v19, v21, v16 offset0:2 offset1:3
	v_pack_b32_f16 v15, v119, v128
	v_pack_b32_f16 v16, v22, v107
	;; [unrolled: 1-line block ×9, first 2 shown]
	ds_write2_b32 v19, v16, v15 offset0:4 offset1:5
	ds_write2_b32 v19, v20, v18 offset0:6 offset1:7
	;; [unrolled: 1-line block ×4, first 2 shown]
	ds_write_b32 v19, v14 offset:48
.LBB0_13:
	s_or_b32 exec_lo, exec_lo, s0
	v_add_nc_u32_e32 v32, 0x400, v37
	s_waitcnt lgkmcnt(0)
	s_barrier
	buffer_gl0_inv
	ds_read2_b32 v[14:15], v37 offset1:26
	ds_read2_b32 v[16:17], v37 offset0:52 offset1:78
	ds_read2_b32 v[18:19], v37 offset0:156 offset1:182
	;; [unrolled: 1-line block ×5, first 2 shown]
	s_waitcnt lgkmcnt(0)
	s_barrier
	buffer_gl0_inv
	v_lshrrev_b32_e32 v33, 16, v14
	v_lshrrev_b32_e32 v34, 16, v17
	;; [unrolled: 1-line block ×6, first 2 shown]
	v_mul_f16_sdwa v57, v6, v17 dst_sel:DWORD dst_unused:UNUSED_PAD src0_sel:WORD_1 src1_sel:DWORD
	v_mul_f16_sdwa v58, v7, v18 dst_sel:DWORD dst_unused:UNUSED_PAD src0_sel:WORD_1 src1_sel:DWORD
	;; [unrolled: 1-line block ×3, first 2 shown]
	v_lshrrev_b32_e32 v60, 16, v24
	v_mul_f16_sdwa v61, v6, v34 dst_sel:DWORD dst_unused:UNUSED_PAD src0_sel:WORD_1 src1_sel:DWORD
	v_mul_f16_sdwa v62, v7, v35 dst_sel:DWORD dst_unused:UNUSED_PAD src0_sel:WORD_1 src1_sel:DWORD
	v_mul_f16_sdwa v64, v8, v50 dst_sel:DWORD dst_unused:UNUSED_PAD src0_sel:WORD_1 src1_sel:DWORD
	v_lshrrev_b32_e32 v55, 16, v23
	v_lshrrev_b32_e32 v56, 16, v20
	v_fma_f16 v34, v6, v34, -v57
	v_fmac_f16_e32 v61, v6, v17
	v_fmac_f16_e32 v62, v7, v18
	v_fma_f16 v6, v7, v35, -v58
	v_fmac_f16_e32 v64, v8, v21
	v_fma_f16 v7, v8, v50, -v59
	v_mul_f16_sdwa v8, v3, v52 dst_sel:DWORD dst_unused:UNUSED_PAD src0_sel:WORD_1 src1_sel:DWORD
	v_mul_f16_sdwa v17, v3, v22 dst_sel:DWORD dst_unused:UNUSED_PAD src0_sel:WORD_1 src1_sel:DWORD
	;; [unrolled: 1-line block ×5, first 2 shown]
	v_lshrrev_b32_e32 v63, 16, v25
	v_fmac_f16_e32 v8, v3, v22
	v_fma_f16 v3, v3, v52, -v17
	v_fmac_f16_e32 v18, v4, v19
	v_fma_f16 v4, v4, v53, -v21
	v_fmac_f16_e32 v35, v5, v24
	v_mul_f16_sdwa v17, v5, v24 dst_sel:DWORD dst_unused:UNUSED_PAD src0_sel:WORD_1 src1_sel:DWORD
	v_mul_f16_sdwa v19, v0, v55 dst_sel:DWORD dst_unused:UNUSED_PAD src0_sel:WORD_1 src1_sel:DWORD
	v_mul_f16_sdwa v21, v0, v23 dst_sel:DWORD dst_unused:UNUSED_PAD src0_sel:WORD_1 src1_sel:DWORD
	v_mul_f16_sdwa v22, v1, v56 dst_sel:DWORD dst_unused:UNUSED_PAD src0_sel:WORD_1 src1_sel:DWORD
	v_mul_f16_sdwa v24, v1, v20 dst_sel:DWORD dst_unused:UNUSED_PAD src0_sel:WORD_1 src1_sel:DWORD
	v_fma_f16 v5, v5, v60, -v17
	v_fmac_f16_e32 v19, v0, v23
	v_fma_f16 v0, v0, v55, -v21
	v_fmac_f16_e32 v22, v1, v20
	v_fma_f16 v1, v1, v56, -v24
	v_mul_f16_sdwa v21, v2, v63 dst_sel:DWORD dst_unused:UNUSED_PAD src0_sel:WORD_1 src1_sel:DWORD
	v_mul_f16_sdwa v24, v2, v25 dst_sel:DWORD dst_unused:UNUSED_PAD src0_sel:WORD_1 src1_sel:DWORD
	v_sub_f16_e32 v17, v14, v62
	v_sub_f16_e32 v20, v61, v64
	;; [unrolled: 1-line block ×4, first 2 shown]
	v_lshrrev_b32_e32 v51, 16, v15
	v_lshrrev_b32_e32 v54, 16, v16
	v_fmac_f16_e32 v21, v2, v25
	v_fma_f16 v2, v2, v63, -v24
	v_fma_f16 v14, v14, 2.0, -v17
	v_fma_f16 v23, v61, 2.0, -v20
	;; [unrolled: 1-line block ×4, first 2 shown]
	v_sub_f16_e32 v18, v15, v18
	v_sub_f16_e32 v25, v8, v35
	;; [unrolled: 1-line block ×10, first 2 shown]
	v_add_f16_e32 v7, v17, v7
	v_sub_f16_e32 v20, v6, v20
	v_fma_f16 v15, v15, 2.0, -v18
	v_fma_f16 v8, v8, 2.0, -v25
	;; [unrolled: 1-line block ×12, first 2 shown]
	v_sub_f16_e32 v8, v15, v8
	v_sub_f16_e32 v3, v34, v3
	v_add_f16_e32 v5, v18, v5
	v_sub_f16_e32 v25, v4, v25
	v_sub_f16_e32 v19, v16, v19
	;; [unrolled: 1-line block ×3, first 2 shown]
	v_add_f16_e32 v2, v22, v2
	v_sub_f16_e32 v21, v1, v21
	v_pack_b32_f16 v14, v14, v33
	v_pack_b32_f16 v6, v17, v6
	v_fma_f16 v15, v15, 2.0, -v8
	v_fma_f16 v34, v34, 2.0, -v3
	;; [unrolled: 1-line block ×8, first 2 shown]
	ds_write2_b32 v39, v14, v6 offset1:13
	v_pack_b32_f16 v6, v23, v24
	v_pack_b32_f16 v7, v7, v20
	;; [unrolled: 1-line block ×10, first 2 shown]
	ds_write2_b32 v39, v6, v7 offset0:26 offset1:39
	ds_write2_b32 v41, v14, v4 offset1:13
	ds_write2_b32 v41, v3, v5 offset0:26 offset1:39
	ds_write2_b32 v40, v8, v1 offset1:13
	ds_write2_b32 v40, v0, v2 offset0:26 offset1:39
	s_waitcnt lgkmcnt(0)
	s_barrier
	buffer_gl0_inv
	ds_read2_b32 v[0:1], v37 offset1:26
	ds_read2_b32 v[2:3], v37 offset0:104 offset1:130
	ds_read2_b32 v[4:5], v37 offset0:208 offset1:234
	;; [unrolled: 1-line block ×5, first 2 shown]
	s_waitcnt lgkmcnt(0)
	s_barrier
	buffer_gl0_inv
	v_lshrrev_b32_e32 v8, 16, v0
	v_lshrrev_b32_e32 v18, 16, v2
	v_lshrrev_b32_e32 v19, 16, v4
	v_lshrrev_b32_e32 v21, 16, v3
	v_mul_f16_sdwa v39, v12, v2 dst_sel:DWORD dst_unused:UNUSED_PAD src0_sel:WORD_1 src1_sel:DWORD
	v_lshrrev_b32_e32 v22, 16, v5
	v_mul_f16_sdwa v34, v12, v18 dst_sel:DWORD dst_unused:UNUSED_PAD src0_sel:WORD_1 src1_sel:DWORD
	v_mul_f16_sdwa v41, v13, v19 dst_sel:DWORD dst_unused:UNUSED_PAD src0_sel:WORD_1 src1_sel:DWORD
	v_lshrrev_b32_e32 v24, 16, v14
	v_fma_f16 v18, v12, v18, -v39
	v_mul_f16_sdwa v39, v10, v21 dst_sel:DWORD dst_unused:UNUSED_PAD src0_sel:WORD_1 src1_sel:DWORD
	v_fmac_f16_e32 v34, v12, v2
	v_mul_f16_sdwa v2, v13, v4 dst_sel:DWORD dst_unused:UNUSED_PAD src0_sel:WORD_1 src1_sel:DWORD
	v_fmac_f16_e32 v41, v13, v4
	v_mul_f16_sdwa v4, v10, v3 dst_sel:DWORD dst_unused:UNUSED_PAD src0_sel:WORD_1 src1_sel:DWORD
	v_lshrrev_b32_e32 v25, 16, v16
	v_fmac_f16_e32 v39, v10, v3
	v_fma_f16 v2, v13, v19, -v2
	v_mul_f16_sdwa v19, v11, v22 dst_sel:DWORD dst_unused:UNUSED_PAD src0_sel:WORD_1 src1_sel:DWORD
	v_mul_f16_sdwa v3, v11, v5 dst_sel:DWORD dst_unused:UNUSED_PAD src0_sel:WORD_1 src1_sel:DWORD
	v_lshrrev_b32_e32 v35, 16, v15
	v_fma_f16 v4, v10, v21, -v4
	v_mul_f16_sdwa v21, v12, v24 dst_sel:DWORD dst_unused:UNUSED_PAD src0_sel:WORD_1 src1_sel:DWORD
	v_fmac_f16_e32 v19, v11, v5
	v_mul_f16_sdwa v5, v12, v14 dst_sel:DWORD dst_unused:UNUSED_PAD src0_sel:WORD_1 src1_sel:DWORD
	v_fma_f16 v3, v11, v22, -v3
	v_mul_f16_sdwa v22, v13, v25 dst_sel:DWORD dst_unused:UNUSED_PAD src0_sel:WORD_1 src1_sel:DWORD
	v_lshrrev_b32_e32 v40, 16, v17
	v_fmac_f16_e32 v21, v12, v14
	v_mul_f16_sdwa v14, v13, v16 dst_sel:DWORD dst_unused:UNUSED_PAD src0_sel:WORD_1 src1_sel:DWORD
	v_fma_f16 v5, v12, v24, -v5
	v_mul_f16_sdwa v12, v10, v35 dst_sel:DWORD dst_unused:UNUSED_PAD src0_sel:WORD_1 src1_sel:DWORD
	v_fmac_f16_e32 v22, v13, v16
	v_mul_f16_sdwa v16, v10, v15 dst_sel:DWORD dst_unused:UNUSED_PAD src0_sel:WORD_1 src1_sel:DWORD
	v_fma_f16 v13, v13, v25, -v14
	v_mul_f16_sdwa v14, v11, v40 dst_sel:DWORD dst_unused:UNUSED_PAD src0_sel:WORD_1 src1_sel:DWORD
	v_fmac_f16_e32 v12, v10, v15
	v_mul_f16_sdwa v15, v11, v17 dst_sel:DWORD dst_unused:UNUSED_PAD src0_sel:WORD_1 src1_sel:DWORD
	v_fma_f16 v10, v10, v35, -v16
	v_add_f16_e32 v16, v34, v41
	v_fmac_f16_e32 v14, v11, v17
	v_add_f16_e32 v17, v0, v34
	v_fma_f16 v11, v11, v40, -v15
	v_add_f16_e32 v15, v18, v2
	v_fma_f16 v0, -0.5, v16, v0
	v_sub_f16_e32 v16, v18, v2
	v_add_f16_e32 v18, v8, v18
	v_lshrrev_b32_e32 v20, 16, v1
	v_fmac_f16_e32 v8, -0.5, v15
	v_sub_f16_e32 v15, v34, v41
	v_fmamk_f16 v24, v16, 0xbaee, v0
	v_fmac_f16_e32 v0, 0x3aee, v16
	v_add_f16_e32 v16, v39, v19
	v_add_f16_e32 v2, v18, v2
	v_fmamk_f16 v18, v15, 0x3aee, v8
	v_fmac_f16_e32 v8, 0xbaee, v15
	v_add_f16_e32 v15, v4, v3
	v_add_f16_e32 v25, v1, v39
	v_fmac_f16_e32 v1, -0.5, v16
	v_sub_f16_e32 v16, v4, v3
	v_add_f16_e32 v4, v20, v4
	v_fmac_f16_e32 v20, -0.5, v15
	v_sub_f16_e32 v15, v39, v19
	v_lshrrev_b32_e32 v23, 16, v6
	v_add_f16_e32 v25, v25, v19
	v_add_f16_e32 v3, v4, v3
	;; [unrolled: 1-line block ×3, first 2 shown]
	v_fmamk_f16 v19, v16, 0xbaee, v1
	v_fmac_f16_e32 v1, 0x3aee, v16
	v_fmamk_f16 v16, v15, 0x3aee, v20
	v_fmac_f16_e32 v20, 0xbaee, v15
	v_add_f16_e32 v15, v5, v13
	v_add_f16_e32 v34, v6, v21
	v_fma_f16 v4, -0.5, v4, v6
	v_sub_f16_e32 v6, v5, v13
	v_add_f16_e32 v5, v23, v5
	v_fmac_f16_e32 v23, -0.5, v15
	v_sub_f16_e32 v15, v21, v22
	v_lshrrev_b32_e32 v33, 16, v7
	v_fmamk_f16 v21, v6, 0xbaee, v4
	v_fmac_f16_e32 v4, 0x3aee, v6
	v_add_f16_e32 v6, v12, v14
	v_add_f16_e32 v5, v5, v13
	v_fmamk_f16 v13, v15, 0x3aee, v23
	v_fmac_f16_e32 v23, 0xbaee, v15
	v_add_f16_e32 v15, v10, v11
	v_add_f16_e32 v17, v17, v41
	;; [unrolled: 1-line block ×4, first 2 shown]
	v_fmac_f16_e32 v7, -0.5, v6
	v_sub_f16_e32 v6, v10, v11
	v_add_f16_e32 v10, v33, v10
	v_fmac_f16_e32 v33, -0.5, v15
	v_sub_f16_e32 v12, v12, v14
	v_pack_b32_f16 v2, v17, v2
	v_pack_b32_f16 v3, v25, v3
	v_add_f16_e32 v14, v22, v14
	v_fmamk_f16 v15, v6, 0xbaee, v7
	v_fmac_f16_e32 v7, 0x3aee, v6
	v_add_f16_e32 v6, v10, v11
	v_fmamk_f16 v10, v12, 0x3aee, v33
	v_fmac_f16_e32 v33, 0xbaee, v12
	v_pack_b32_f16 v11, v24, v18
	ds_write2_b32 v37, v2, v3 offset1:26
	v_pack_b32_f16 v2, v19, v16
	v_pack_b32_f16 v0, v0, v8
	;; [unrolled: 1-line block ×9, first 2 shown]
	ds_write2_b32 v37, v11, v2 offset0:52 offset1:78
	ds_write2_b32 v37, v0, v1 offset0:104 offset1:130
	;; [unrolled: 1-line block ×5, first 2 shown]
	s_waitcnt lgkmcnt(0)
	s_barrier
	buffer_gl0_inv
	ds_read2_b32 v[0:1], v37 offset1:26
	ds_read2_b32 v[2:3], v37 offset0:156 offset1:182
	ds_read2_b32 v[4:5], v37 offset0:52 offset1:78
	;; [unrolled: 1-line block ×5, first 2 shown]
	s_waitcnt lgkmcnt(5)
	v_lshrrev_b32_e32 v8, 16, v0
	s_waitcnt lgkmcnt(4)
	v_lshrrev_b32_e32 v14, 16, v2
	v_lshrrev_b32_e32 v16, 16, v3
	v_mul_f16_sdwa v24, v47, v2 dst_sel:DWORD dst_unused:UNUSED_PAD src0_sel:WORD_1 src1_sel:DWORD
	s_waitcnt lgkmcnt(2)
	v_lshrrev_b32_e32 v18, 16, v6
	v_lshrrev_b32_e32 v20, 16, v7
	v_mul_f16_sdwa v23, v47, v14 dst_sel:DWORD dst_unused:UNUSED_PAD src0_sel:WORD_1 src1_sel:DWORD
	v_mul_f16_sdwa v32, v43, v16 dst_sel:DWORD dst_unused:UNUSED_PAD src0_sel:WORD_1 src1_sel:DWORD
	s_waitcnt lgkmcnt(0)
	v_lshrrev_b32_e32 v22, 16, v12
	v_lshrrev_b32_e32 v33, 16, v13
	v_mul_f16_sdwa v34, v46, v20 dst_sel:DWORD dst_unused:UNUSED_PAD src0_sel:WORD_1 src1_sel:DWORD
	v_fmac_f16_e32 v23, v47, v2
	v_fma_f16 v2, v47, v14, -v24
	v_mul_f16_sdwa v14, v43, v3 dst_sel:DWORD dst_unused:UNUSED_PAD src0_sel:WORD_1 src1_sel:DWORD
	v_fmac_f16_e32 v32, v43, v3
	v_mul_f16_sdwa v3, v44, v18 dst_sel:DWORD dst_unused:UNUSED_PAD src0_sel:WORD_1 src1_sel:DWORD
	v_mul_f16_sdwa v24, v44, v6 dst_sel:DWORD dst_unused:UNUSED_PAD src0_sel:WORD_1 src1_sel:DWORD
	v_lshrrev_b32_e32 v15, 16, v1
	v_fma_f16 v14, v43, v16, -v14
	v_mul_f16_sdwa v16, v46, v7 dst_sel:DWORD dst_unused:UNUSED_PAD src0_sel:WORD_1 src1_sel:DWORD
	v_fmac_f16_e32 v3, v44, v6
	v_fma_f16 v6, v44, v18, -v24
	v_fmac_f16_e32 v34, v46, v7
	v_mul_f16_sdwa v7, v42, v22 dst_sel:DWORD dst_unused:UNUSED_PAD src0_sel:WORD_1 src1_sel:DWORD
	v_mul_f16_sdwa v18, v42, v12 dst_sel:DWORD dst_unused:UNUSED_PAD src0_sel:WORD_1 src1_sel:DWORD
	v_lshrrev_b32_e32 v17, 16, v4
	v_lshrrev_b32_e32 v19, 16, v5
	v_fma_f16 v16, v46, v20, -v16
	v_mul_f16_sdwa v20, v45, v33 dst_sel:DWORD dst_unused:UNUSED_PAD src0_sel:WORD_1 src1_sel:DWORD
	v_mul_f16_sdwa v24, v45, v13 dst_sel:DWORD dst_unused:UNUSED_PAD src0_sel:WORD_1 src1_sel:DWORD
	v_fmac_f16_e32 v7, v42, v12
	v_sub_f16_e32 v12, v0, v23
	v_fma_f16 v18, v42, v22, -v18
	v_sub_f16_e32 v2, v8, v2
	v_sub_f16_e32 v22, v1, v32
	;; [unrolled: 1-line block ×3, first 2 shown]
	v_lshrrev_b32_e32 v21, 16, v10
	v_lshrrev_b32_e32 v25, 16, v11
	v_fmac_f16_e32 v20, v45, v13
	v_fma_f16 v13, v45, v33, -v24
	v_sub_f16_e32 v3, v4, v3
	v_sub_f16_e32 v6, v17, v6
	;; [unrolled: 1-line block ×4, first 2 shown]
	v_fma_f16 v0, v0, 2.0, -v12
	v_fma_f16 v8, v8, 2.0, -v2
	;; [unrolled: 1-line block ×4, first 2 shown]
	v_sub_f16_e32 v7, v10, v7
	v_sub_f16_e32 v18, v21, v18
	v_fma_f16 v4, v4, 2.0, -v3
	v_fma_f16 v17, v17, 2.0, -v6
	;; [unrolled: 1-line block ×3, first 2 shown]
	v_sub_f16_e32 v20, v11, v20
	v_fma_f16 v19, v19, 2.0, -v16
	v_sub_f16_e32 v13, v25, v13
	v_pack_b32_f16 v0, v0, v8
	v_pack_b32_f16 v1, v1, v15
	v_fma_f16 v10, v10, 2.0, -v7
	v_fma_f16 v21, v21, 2.0, -v18
	v_pack_b32_f16 v2, v12, v2
	v_pack_b32_f16 v8, v22, v14
	v_fma_f16 v11, v11, 2.0, -v20
	v_pack_b32_f16 v4, v4, v17
	v_pack_b32_f16 v5, v5, v19
	v_fma_f16 v12, v25, 2.0, -v13
	ds_write2_b32 v38, v0, v1 offset1:26
	ds_write2_b32 v38, v2, v8 offset0:156 offset1:182
	v_pack_b32_f16 v0, v3, v6
	v_pack_b32_f16 v1, v23, v16
	;; [unrolled: 1-line block ×4, first 2 shown]
	ds_write2_b32 v38, v4, v5 offset0:52 offset1:78
	v_pack_b32_f16 v4, v11, v12
	v_pack_b32_f16 v5, v20, v13
	ds_write2_b32 v38, v0, v1 offset0:208 offset1:234
	ds_write_b32 v38, v2 offset:416
	ds_write_b32 v49, v3 offset:624
	ds_write_b32 v38, v4 offset:520
	ds_write_b32 v48, v5 offset:624
	s_waitcnt lgkmcnt(0)
	s_barrier
	buffer_gl0_inv
	s_and_b32 exec_lo, exec_lo, vcc_lo
	s_cbranch_execz .LBB0_15
; %bb.14:
	s_clause 0x5
	global_load_dword v0, v28, s[24:25]
	global_load_dword v3, v28, s[24:25] offset:96
	global_load_dword v4, v28, s[24:25] offset:192
	;; [unrolled: 1-line block ×5, first 2 shown]
	ds_read_b32 v22, v38
	v_lshl_add_u32 v5, v31, 2, v36
	v_mad_u64_u32 v[6:7], null, s22, v9, 0
	v_mad_u64_u32 v[14:15], null, s20, v30, 0
	ds_read2_b32 v[16:17], v5 offset0:24 offset1:48
	ds_read2_b32 v[18:19], v5 offset0:72 offset1:96
	s_clause 0x1
	global_load_dword v11, v28, s[24:25] offset:576
	global_load_dword v10, v28, s[24:25] offset:672
	s_mov_b32 s26, 0x1a41a41a
	v_mov_b32_e32 v1, v7
	s_mov_b32 s27, 0x3f6a41a4
	v_mov_b32_e32 v2, v15
	s_mul_i32 s0, s21, 0x60
	s_mul_hi_u32 s22, s20, 0x60
	s_mul_i32 s19, s20, 0x60
	s_add_i32 s22, s22, s0
	v_mad_u64_u32 v[7:8], null, s23, v9, v[1:2]
	s_waitcnt lgkmcnt(2)
	v_lshrrev_b32_e32 v23, 16, v22
	v_lshlrev_b64 v[6:7], 2, v[6:7]
	s_waitcnt lgkmcnt(1)
	v_lshrrev_b32_e32 v24, 16, v16
	v_lshrrev_b32_e32 v25, 16, v17
	s_waitcnt lgkmcnt(0)
	v_lshrrev_b32_e32 v31, 16, v19
	v_add_co_u32 v6, vcc_lo, s6, v6
	v_add_co_ci_u32_e32 v7, vcc_lo, s7, v7, vcc_lo
	s_waitcnt vmcnt(7)
	v_mul_f16_sdwa v32, v23, v0 dst_sel:DWORD dst_unused:UNUSED_PAD src0_sel:DWORD src1_sel:WORD_1
	s_waitcnt vmcnt(6)
	v_mad_u64_u32 v[20:21], null, s21, v30, v[2:3]
	ds_read2_b32 v[1:2], v5 offset0:120 offset1:144
	v_mul_f16_sdwa v33, v22, v0 dst_sel:DWORD dst_unused:UNUSED_PAD src0_sel:DWORD src1_sel:WORD_1
	v_mul_f16_sdwa v34, v24, v3 dst_sel:DWORD dst_unused:UNUSED_PAD src0_sel:DWORD src1_sel:WORD_1
	;; [unrolled: 1-line block ×3, first 2 shown]
	v_fmac_f16_e32 v32, v22, v0
	v_lshrrev_b32_e32 v30, 16, v18
	s_waitcnt vmcnt(5)
	v_mul_f16_sdwa v36, v25, v4 dst_sel:DWORD dst_unused:UNUSED_PAD src0_sel:DWORD src1_sel:WORD_1
	v_mul_f16_sdwa v37, v17, v4 dst_sel:DWORD dst_unused:UNUSED_PAD src0_sel:DWORD src1_sel:WORD_1
	v_fma_f16 v0, v0, v23, -v33
	v_fmac_f16_e32 v34, v16, v3
	v_fma_f16 v16, v3, v24, -v35
	v_cvt_f32_f16_e32 v3, v32
	s_waitcnt vmcnt(4)
	v_mul_f16_sdwa v38, v30, v12 dst_sel:DWORD dst_unused:UNUSED_PAD src0_sel:DWORD src1_sel:WORD_1
	v_mul_f16_sdwa v39, v18, v12 dst_sel:DWORD dst_unused:UNUSED_PAD src0_sel:DWORD src1_sel:WORD_1
	s_waitcnt vmcnt(3)
	v_mul_f16_sdwa v42, v31, v13 dst_sel:DWORD dst_unused:UNUSED_PAD src0_sel:DWORD src1_sel:WORD_1
	v_mul_f16_sdwa v43, v19, v13 dst_sel:DWORD dst_unused:UNUSED_PAD src0_sel:DWORD src1_sel:WORD_1
	v_fmac_f16_e32 v36, v17, v4
	v_fma_f16 v17, v4, v25, -v37
	v_cvt_f32_f16_e32 v0, v0
	v_cvt_f64_f32_e32 v[3:4], v3
	s_waitcnt lgkmcnt(0)
	v_lshrrev_b32_e32 v41, 16, v1
	v_fmac_f16_e32 v38, v18, v12
	v_fma_f16 v18, v12, v30, -v39
	v_fmac_f16_e32 v42, v19, v13
	v_fma_f16 v19, v13, v31, -v43
	s_waitcnt vmcnt(2)
	v_mul_f16_sdwa v44, v41, v40 dst_sel:DWORD dst_unused:UNUSED_PAD src0_sel:DWORD src1_sel:WORD_1
	v_cvt_f64_f32_e32 v[12:13], v0
	v_cvt_f32_f16_e32 v0, v34
	v_mul_f16_sdwa v45, v1, v40 dst_sel:DWORD dst_unused:UNUSED_PAD src0_sel:DWORD src1_sel:WORD_1
	v_cvt_f32_f16_e32 v16, v16
	v_fmac_f16_e32 v44, v1, v40
	v_cvt_f32_f16_e32 v22, v36
	v_cvt_f64_f32_e32 v[0:1], v0
	v_cvt_f32_f16_e32 v23, v17
	v_cvt_f64_f32_e32 v[16:17], v16
	v_cvt_f32_f16_e32 v36, v44
	v_mov_b32_e32 v15, v20
	v_cvt_f32_f16_e32 v30, v18
	v_cvt_f32_f16_e32 v34, v19
	v_cvt_f64_f32_e32 v[18:19], v22
	v_cvt_f32_f16_e32 v24, v38
	v_cvt_f64_f32_e32 v[36:37], v36
	v_mul_f64 v[38:39], v[3:4], s[26:27]
	v_lshlrev_b64 v[14:15], 2, v[14:15]
	v_cvt_f64_f32_e32 v[22:23], v23
	v_cvt_f64_f32_e32 v[24:25], v24
	v_cvt_f32_f16_e32 v32, v42
	v_fma_f16 v3, v40, v41, -v45
	v_mul_f64 v[12:13], v[12:13], s[26:27]
	v_add_co_u32 v14, vcc_lo, v6, v14
	v_add_co_ci_u32_e32 v15, vcc_lo, v7, v15, vcc_lo
	v_cvt_f64_f32_e32 v[30:31], v30
	v_mul_f64 v[42:43], v[0:1], s[26:27]
	v_add_co_u32 v20, vcc_lo, v14, s19
	v_mul_f64 v[16:17], v[16:17], s[26:27]
	v_add_co_ci_u32_e32 v21, vcc_lo, s22, v15, vcc_lo
	v_cvt_f32_f16_e32 v3, v3
	v_cvt_f64_f32_e32 v[32:33], v32
	v_add_co_u32 v40, vcc_lo, v20, s19
	v_mul_f64 v[18:19], v[18:19], s[26:27]
	v_add_co_ci_u32_e32 v41, vcc_lo, s22, v21, vcc_lo
	v_cvt_f64_f32_e32 v[44:45], v3
	v_mul_f64 v[3:4], v[36:37], s[26:27]
	v_and_or_b32 v36, 0x1ff, v39, v38
	v_cvt_f64_f32_e32 v[34:35], v34
	v_add_co_u32 v0, vcc_lo, v40, s19
	v_mul_f64 v[22:23], v[22:23], s[26:27]
	v_add_co_ci_u32_e32 v1, vcc_lo, s22, v41, vcc_lo
	v_and_or_b32 v12, 0x1ff, v13, v12
	v_cmp_ne_u32_e32 vcc_lo, 0, v36
	v_mul_f64 v[24:25], v[24:25], s[26:27]
	v_and_or_b32 v42, 0x1ff, v43, v42
	v_mul_f64 v[30:31], v[30:31], s[26:27]
	v_and_or_b32 v16, 0x1ff, v17, v16
	v_cndmask_b32_e64 v36, 0, 1, vcc_lo
	v_cmp_ne_u32_e32 vcc_lo, 0, v12
	v_mul_f64 v[32:33], v[32:33], s[26:27]
	v_lshrrev_b32_e32 v37, 8, v39
	v_and_or_b32 v18, 0x1ff, v19, v18
	v_bfe_u32 v38, v39, 20, 11
	v_cndmask_b32_e64 v12, 0, 1, vcc_lo
	v_cmp_ne_u32_e32 vcc_lo, 0, v42
	v_and_or_b32 v3, 0x1ff, v4, v3
	v_lshrrev_b32_e32 v46, 8, v13
	v_mul_f64 v[34:35], v[34:35], s[26:27]
	v_bfe_u32 v47, v13, 20, 11
	v_cndmask_b32_e64 v42, 0, 1, vcc_lo
	v_cmp_ne_u32_e32 vcc_lo, 0, v16
	v_and_or_b32 v22, 0x1ff, v23, v22
	v_and_or_b32 v36, 0xffe, v37, v36
	v_lshrrev_b32_e32 v48, 8, v43
	v_bfe_u32 v49, v43, 20, 11
	v_cndmask_b32_e64 v16, 0, 1, vcc_lo
	v_cmp_ne_u32_e32 vcc_lo, 0, v18
	v_and_or_b32 v24, 0x1ff, v25, v24
	v_and_or_b32 v30, 0x1ff, v31, v30
	v_bfe_u32 v51, v17, 20, 11
	v_sub_nc_u32_e32 v65, 0x3f1, v38
	v_cndmask_b32_e64 v18, 0, 1, vcc_lo
	v_cmp_ne_u32_e32 vcc_lo, 0, v22
	v_and_or_b32 v32, 0x1ff, v33, v32
	v_add_nc_u32_e32 v38, 0xfffffc10, v38
	v_sub_nc_u32_e32 v66, 0x3f1, v47
	v_and_or_b32 v12, 0xffe, v46, v12
	v_cndmask_b32_e64 v22, 0, 1, vcc_lo
	v_cmp_ne_u32_e32 vcc_lo, 0, v24
	v_and_or_b32 v34, 0x1ff, v35, v34
	v_lshrrev_b32_e32 v50, 8, v17
	v_bfe_u32 v53, v19, 20, 11
	v_bfe_u32 v55, v23, 20, 11
	v_cndmask_b32_e64 v24, 0, 1, vcc_lo
	v_cmp_ne_u32_e32 vcc_lo, 0, v30
	v_add_nc_u32_e32 v47, 0xfffffc10, v47
	v_sub_nc_u32_e32 v67, 0x3f1, v49
	v_sub_nc_u32_e32 v68, 0x3f1, v51
	v_med3_i32 v37, v65, 0, 13
	v_cndmask_b32_e64 v30, 0, 1, vcc_lo
	v_cmp_ne_u32_e32 vcc_lo, 0, v32
	v_med3_i32 v46, v66, 0, 13
	v_and_or_b32 v42, 0xffe, v48, v42
	v_or_b32_e32 v65, 0x1000, v36
	v_lshl_or_b32 v66, v38, 12, v36
	v_cndmask_b32_e64 v32, 0, 1, vcc_lo
	v_cmp_ne_u32_e32 vcc_lo, 0, v34
	v_lshrrev_b32_e32 v52, 8, v19
	v_lshrrev_b32_e32 v54, 8, v23
	v_bfe_u32 v57, v25, 20, 11
	v_bfe_u32 v59, v31, 20, 11
	v_cndmask_b32_e64 v34, 0, 1, vcc_lo
	v_cmp_ne_u32_e32 vcc_lo, 0, v3
	v_add_nc_u32_e32 v49, 0xfffffc10, v49
	v_sub_nc_u32_e32 v69, 0x3f1, v53
	v_sub_nc_u32_e32 v70, 0x3f1, v55
	v_med3_i32 v48, v67, 0, 13
	v_cndmask_b32_e64 v3, 0, 1, vcc_lo
	v_cmp_ne_u32_e32 vcc_lo, 0, v36
	v_and_or_b32 v16, 0xffe, v50, v16
	v_med3_i32 v50, v68, 0, 13
	v_or_b32_e32 v67, 0x1000, v12
	v_lshl_or_b32 v68, v47, 12, v12
	v_cndmask_b32_e64 v36, 0, 1, vcc_lo
	v_cmp_ne_u32_e32 vcc_lo, 0, v12
	v_lshrrev_b32_e32 v56, 8, v25
	v_lshrrev_b32_e32 v58, 8, v31
	v_bfe_u32 v61, v33, 20, 11
	v_bfe_u32 v63, v35, 20, 11
	v_cndmask_b32_e64 v12, 0, 1, vcc_lo
	v_cmp_ne_u32_e32 vcc_lo, 0, v42
	v_add_nc_u32_e32 v51, 0xfffffc10, v51
	v_sub_nc_u32_e32 v71, 0x3f1, v57
	v_sub_nc_u32_e32 v72, 0x3f1, v59
	v_and_or_b32 v18, 0xffe, v52, v18
	v_med3_i32 v52, v69, 0, 13
	v_and_or_b32 v22, 0xffe, v54, v22
	v_med3_i32 v54, v70, 0, 13
	v_or_b32_e32 v69, 0x1000, v42
	v_lshl_or_b32 v70, v49, 12, v42
	v_cndmask_b32_e64 v42, 0, 1, vcc_lo
	v_cmp_ne_u32_e32 vcc_lo, 0, v16
	v_lshrrev_b32_e32 v60, 8, v33
	v_lshrrev_b32_e32 v62, 8, v35
	v_add_nc_u32_e32 v53, 0xfffffc10, v53
	v_sub_nc_u32_e32 v73, 0x3f1, v61
	v_sub_nc_u32_e32 v74, 0x3f1, v63
	v_and_or_b32 v24, 0xffe, v56, v24
	v_med3_i32 v56, v71, 0, 13
	v_and_or_b32 v30, 0xffe, v58, v30
	v_med3_i32 v58, v72, 0, 13
	v_or_b32_e32 v71, 0x1000, v16
	v_lshl_or_b32 v72, v51, 12, v16
	v_cndmask_b32_e64 v16, 0, 1, vcc_lo
	v_cmp_ne_u32_e32 vcc_lo, 0, v18
	v_add_nc_u32_e32 v55, 0xfffffc10, v55
	v_and_or_b32 v32, 0xffe, v60, v32
	v_med3_i32 v60, v73, 0, 13
	v_and_or_b32 v34, 0xffe, v62, v34
	v_med3_i32 v62, v74, 0, 13
	v_or_b32_e32 v73, 0x1000, v18
	v_lshl_or_b32 v74, v53, 12, v18
	v_cndmask_b32_e64 v18, 0, 1, vcc_lo
	v_cmp_ne_u32_e32 vcc_lo, 0, v22
	v_add_nc_u32_e32 v57, 0xfffffc10, v57
	v_or_b32_e32 v75, 0x1000, v22
	v_lshl_or_b32 v76, v55, 12, v22
	v_add_nc_u32_e32 v59, 0xfffffc10, v59
	v_cndmask_b32_e64 v22, 0, 1, vcc_lo
	v_cmp_ne_u32_e32 vcc_lo, 0, v24
	v_or_b32_e32 v77, 0x1000, v24
	v_lshl_or_b32 v78, v57, 12, v24
	v_lshrrev_b32_e32 v85, v37, v65
	v_add_nc_u32_e32 v61, 0xfffffc10, v61
	v_cndmask_b32_e64 v24, 0, 1, vcc_lo
	v_cmp_ne_u32_e32 vcc_lo, 0, v30
	v_or_b32_e32 v79, 0x1000, v30
	v_lshl_or_b32 v80, v59, 12, v30
	v_lshrrev_b32_e32 v86, v46, v67
	v_lshlrev_b32_e32 v37, v37, v85
	v_cndmask_b32_e64 v30, 0, 1, vcc_lo
	v_cmp_ne_u32_e32 vcc_lo, 0, v32
	v_or_b32_e32 v81, 0x1000, v32
	v_lshl_or_b32 v82, v61, 12, v32
	v_lshrrev_b32_e32 v87, v48, v69
	v_lshlrev_b32_e32 v46, v46, v86
	v_cndmask_b32_e64 v32, 0, 1, vcc_lo
	v_cmp_ne_u32_e32 vcc_lo, v37, v65
	v_lshrrev_b32_e32 v88, v50, v71
	v_lshlrev_b32_e32 v48, v48, v87
	v_lshrrev_b32_e32 v89, v52, v73
	v_lshrrev_b32_e32 v90, v54, v75
	v_cndmask_b32_e64 v37, 0, 1, vcc_lo
	v_cmp_ne_u32_e32 vcc_lo, v46, v67
	v_lshlrev_b32_e32 v50, v50, v88
	v_lshlrev_b32_e32 v52, v52, v89
	v_lshrrev_b32_e32 v91, v56, v77
	v_lshlrev_b32_e32 v54, v54, v90
	v_cndmask_b32_e64 v46, 0, 1, vcc_lo
	v_cmp_ne_u32_e32 vcc_lo, v48, v69
	v_lshrrev_b32_e32 v92, v58, v79
	v_lshlrev_b32_e32 v56, v56, v91
	v_or_b32_e32 v83, 0x1000, v34
	v_lshrrev_b32_e32 v93, v60, v81
	v_cndmask_b32_e64 v48, 0, 1, vcc_lo
	v_cmp_ne_u32_e32 vcc_lo, v50, v71
	v_lshlrev_b32_e32 v58, v58, v92
	v_lshrrev_b32_e32 v94, v62, v83
	v_lshlrev_b32_e32 v60, v60, v93
	v_or_b32_e32 v37, v85, v37
	v_cndmask_b32_e64 v50, 0, 1, vcc_lo
	v_cmp_ne_u32_e32 vcc_lo, v52, v73
	v_lshlrev_b32_e32 v62, v62, v94
	v_or_b32_e32 v46, v86, v46
	v_or_b32_e32 v48, v87, v48
	;; [unrolled: 1-line block ×3, first 2 shown]
	v_cndmask_b32_e64 v52, 0, 1, vcc_lo
	v_cmp_ne_u32_e32 vcc_lo, v54, v75
	v_add_nc_u32_e32 v63, 0xfffffc10, v63
	s_clause 0x1
	global_load_dword v9, v28, s[24:25] offset:768
	global_load_dword v8, v28, s[24:25] offset:864
	v_lshl_or_b32 v36, v36, 9, 0x7c00
	v_or_b32_e32 v52, v89, v52
	v_cndmask_b32_e64 v54, 0, 1, vcc_lo
	v_cmp_ne_u32_e32 vcc_lo, v56, v77
	v_lshl_or_b32 v84, v63, 12, v34
	v_lshl_or_b32 v12, v12, 9, 0x7c00
	v_lshl_or_b32 v42, v42, 9, 0x7c00
	v_or_b32_e32 v54, v90, v54
	v_cndmask_b32_e64 v56, 0, 1, vcc_lo
	v_cmp_ne_u32_e32 vcc_lo, v58, v79
	v_lshl_or_b32 v16, v16, 9, 0x7c00
	v_lshl_or_b32 v18, v18, 9, 0x7c00
	;; [unrolled: 1-line block ×3, first 2 shown]
	v_or_b32_e32 v56, v91, v56
	v_cndmask_b32_e64 v58, 0, 1, vcc_lo
	v_cmp_ne_u32_e32 vcc_lo, v60, v81
	v_lshl_or_b32 v24, v24, 9, 0x7c00
	v_lshrrev_b32_e32 v39, 16, v39
	v_lshrrev_b32_e32 v13, 16, v13
	v_or_b32_e32 v58, v92, v58
	v_cndmask_b32_e64 v60, 0, 1, vcc_lo
	v_cmp_ne_u32_e32 vcc_lo, v62, v83
	v_lshrrev_b32_e32 v43, 16, v43
	v_lshrrev_b32_e32 v17, 16, v17
	;; [unrolled: 1-line block ×3, first 2 shown]
	v_or_b32_e32 v60, v93, v60
	v_cndmask_b32_e64 v62, 0, 1, vcc_lo
	v_cmp_gt_i32_e32 vcc_lo, 1, v38
	v_lshrrev_b32_e32 v25, 16, v25
	v_lshl_or_b32 v30, v30, 9, 0x7c00
	v_lshrrev_b32_e32 v23, 16, v23
	v_or_b32_e32 v62, v94, v62
	v_cndmask_b32_e32 v37, v66, v37, vcc_lo
	v_cmp_gt_i32_e32 vcc_lo, 1, v47
	v_lshrrev_b32_e32 v31, 16, v31
	v_lshl_or_b32 v32, v32, 9, 0x7c00
	v_lshrrev_b32_e32 v64, 8, v4
	v_and_b32_e32 v65, 7, v37
	v_cndmask_b32_e32 v46, v68, v46, vcc_lo
	v_cmp_gt_i32_e32 vcc_lo, 1, v49
	v_lshrrev_b32_e32 v37, 2, v37
	v_lshrrev_b32_e32 v33, 16, v33
	v_cmp_eq_u32_e64 s0, 3, v65
	v_and_b32_e32 v66, 7, v46
	v_cndmask_b32_e32 v48, v70, v48, vcc_lo
	v_cmp_gt_i32_e32 vcc_lo, 1, v51
	v_lshrrev_b32_e32 v46, 2, v46
	v_cmp_lt_i32_e64 s1, 5, v66
	v_and_b32_e32 v67, 7, v48
	v_cndmask_b32_e32 v50, v72, v50, vcc_lo
	v_cmp_gt_i32_e32 vcc_lo, 1, v53
	v_cmp_eq_u32_e64 s2, 3, v66
	v_lshrrev_b32_e32 v48, 2, v48
	v_cmp_lt_i32_e64 s3, 5, v67
	v_and_b32_e32 v68, 7, v50
	v_cndmask_b32_e32 v52, v74, v52, vcc_lo
	v_cmp_gt_i32_e32 vcc_lo, 1, v55
	v_cmp_eq_u32_e64 s4, 3, v67
	;; [unrolled: 6-line block ×6, first 2 shown]
	v_lshrrev_b32_e32 v58, 2, v58
	v_cmp_lt_i32_e64 s13, 5, v72
	v_and_b32_e32 v73, 7, v60
	v_cndmask_b32_e32 v62, v84, v62, vcc_lo
	v_cmp_lt_i32_e32 vcc_lo, 5, v65
	v_cmp_eq_u32_e64 s14, 3, v72
	v_lshrrev_b32_e32 v60, 2, v60
	v_cmp_lt_i32_e64 s15, 5, v73
	v_cmp_eq_u32_e64 s16, 3, v73
	s_or_b32 vcc_lo, s0, vcc_lo
	v_and_b32_e32 v74, 7, v62
	v_add_co_ci_u32_e32 v37, vcc_lo, 0, v37, vcc_lo
	s_or_b32 vcc_lo, s2, s1
	v_lshrrev_b32_e32 v62, 2, v62
	v_add_co_ci_u32_e32 v46, vcc_lo, 0, v46, vcc_lo
	s_or_b32 vcc_lo, s4, s3
	v_cmp_lt_i32_e64 s17, 5, v74
	v_add_co_ci_u32_e32 v48, vcc_lo, 0, v48, vcc_lo
	s_or_b32 vcc_lo, s6, s5
	v_cmp_eq_u32_e64 s18, 3, v74
	v_add_co_ci_u32_e32 v50, vcc_lo, 0, v50, vcc_lo
	s_or_b32 vcc_lo, s8, s7
	s_mul_i32 s2, s21, 0xc0
	v_add_co_ci_u32_e32 v52, vcc_lo, 0, v52, vcc_lo
	s_or_b32 vcc_lo, s10, s9
	v_add_co_ci_u32_e32 v54, vcc_lo, 0, v54, vcc_lo
	s_or_b32 vcc_lo, s12, s11
	;; [unrolled: 2-line block ×4, first 2 shown]
	v_add_co_ci_u32_e32 v60, vcc_lo, 0, v60, vcc_lo
	v_cmp_gt_i32_e32 vcc_lo, 31, v38
	v_cndmask_b32_e32 v37, 0x7c00, v37, vcc_lo
	v_cmp_gt_i32_e32 vcc_lo, 31, v47
	v_cndmask_b32_e32 v46, 0x7c00, v46, vcc_lo
	;; [unrolled: 2-line block ×8, first 2 shown]
	v_cmp_eq_u32_e32 vcc_lo, 0x40f, v38
	v_cndmask_b32_e32 v36, v37, v36, vcc_lo
	v_cmp_eq_u32_e32 vcc_lo, 0x40f, v47
	v_and_or_b32 v36, 0x8000, v39, v36
	v_cndmask_b32_e32 v12, v46, v12, vcc_lo
	v_cmp_eq_u32_e32 vcc_lo, 0x40f, v49
	v_and_or_b32 v12, 0x8000, v13, v12
	;; [unrolled: 3-line block ×3, first 2 shown]
	v_cndmask_b32_e32 v16, v50, v16, vcc_lo
	v_cmp_eq_u32_e32 vcc_lo, 0x40f, v53
	v_and_b32_e32 v13, 0xffff, v13
	v_and_or_b32 v16, 0x8000, v17, v16
	v_cndmask_b32_e32 v18, v52, v18, vcc_lo
	v_cmp_eq_u32_e32 vcc_lo, 0x40f, v55
	v_lshl_or_b32 v13, v16, 16, v13
	v_and_or_b32 v17, 0x8000, v19, v18
	v_cndmask_b32_e32 v22, v54, v22, vcc_lo
	v_cmp_eq_u32_e32 vcc_lo, 0x40f, v57
	v_and_b32_e32 v17, 0xffff, v17
	v_and_or_b32 v18, 0x8000, v23, v22
	v_cndmask_b32_e32 v24, v56, v24, vcc_lo
	v_cmp_eq_u32_e32 vcc_lo, 0x40f, v59
	v_and_b32_e32 v23, 0xffff, v36
	v_lshl_or_b32 v16, v18, 16, v17
	v_and_or_b32 v19, 0x8000, v25, v24
	v_cndmask_b32_e32 v30, v58, v30, vcc_lo
	v_cmp_gt_i32_e32 vcc_lo, 31, v61
	v_lshl_or_b32 v12, v12, 16, v23
	v_and_b32_e32 v19, 0xffff, v19
	v_and_or_b32 v22, 0x8000, v31, v30
	v_cndmask_b32_e32 v24, 0x7c00, v60, vcc_lo
	v_cmp_eq_u32_e32 vcc_lo, 0x40f, v61
	v_lshl_or_b32 v17, v22, 16, v19
	v_bfe_u32 v19, v4, 20, 11
	v_cndmask_b32_e32 v18, v24, v32, vcc_lo
	s_or_b32 vcc_lo, s18, s17
	global_store_dword v[14:15], v12, off
	global_store_dword v[20:21], v13, off
	;; [unrolled: 1-line block ×4, first 2 shown]
	v_mul_f64 v[14:15], v[44:45], s[26:27]
	v_add_co_ci_u32_e32 v16, vcc_lo, 0, v62, vcc_lo
	v_cmp_ne_u32_e32 vcc_lo, 0, v34
	v_and_or_b32 v20, 0xffe, v64, v3
	v_sub_nc_u32_e32 v3, 0x3f1, v19
	v_lshrrev_b32_e32 v21, 16, v2
	v_mad_u64_u32 v[12:13], null, s20, v29, 0
	v_cndmask_b32_e64 v17, 0, 1, vcc_lo
	v_or_b32_e32 v22, 0x1000, v20
	v_med3_i32 v23, v3, 0, 13
	v_cmp_gt_i32_e32 vcc_lo, 31, v63
	s_waitcnt vmcnt(3)
	v_mul_f16_sdwa v24, v21, v11 dst_sel:DWORD dst_unused:UNUSED_PAD src0_sel:DWORD src1_sel:WORD_1
	v_and_or_b32 v25, 0x8000, v33, v18
	v_add_nc_u32_e32 v19, 0xfffffc10, v19
	v_lshrrev_b32_e32 v30, v23, v22
	v_cndmask_b32_e32 v3, 0x7c00, v16, vcc_lo
	v_lshl_or_b32 v16, v17, 9, 0x7c00
	v_cmp_eq_u32_e32 vcc_lo, 0x40f, v63
	v_fmac_f16_e32 v24, v2, v11
	v_lshlrev_b32_e32 v23, v23, v30
	v_and_or_b32 v14, 0x1ff, v15, v14
	v_and_b32_e32 v25, 0xffff, v25
	v_cndmask_b32_e32 v18, v3, v16, vcc_lo
	v_mov_b32_e32 v3, v13
	v_lshrrev_b32_e32 v13, 16, v35
	v_cvt_f32_f16_e32 v24, v24
	v_cmp_ne_u32_e32 vcc_lo, v23, v22
	v_lshrrev_b32_e32 v23, 8, v15
	v_mad_u64_u32 v[16:17], null, s21, v29, v[3:4]
	v_and_or_b32 v3, 0x8000, v13, v18
	v_cvt_f64_f32_e32 v[17:18], v24
	v_cndmask_b32_e64 v22, 0, 1, vcc_lo
	v_cmp_ne_u32_e32 vcc_lo, 0, v14
	v_bfe_u32 v24, v15, 20, 11
	v_cmp_eq_u32_e64 s1, 0x40f, v19
	v_mov_b32_e32 v13, v16
	v_or_b32_e32 v16, v30, v22
	v_lshl_or_b32 v22, v19, 12, v20
	v_cndmask_b32_e64 v14, 0, 1, vcc_lo
	v_cmp_gt_i32_e32 vcc_lo, 1, v19
	v_lshlrev_b64 v[12:13], 2, v[12:13]
	v_lshrrev_b32_e32 v4, 16, v4
	v_lshrrev_b32_e32 v15, 16, v15
	v_and_or_b32 v14, 0xffe, v23, v14
	v_cndmask_b32_e32 v22, v22, v16, vcc_lo
	v_sub_nc_u32_e32 v16, 0x3f1, v24
	v_lshl_or_b32 v23, v3, 16, v25
	v_add_nc_u32_e32 v24, 0xfffffc10, v24
	v_or_b32_e32 v29, 0x1000, v14
	v_and_b32_e32 v25, 7, v22
	v_med3_i32 v30, v16, 0, 13
	v_mad_u64_u32 v[0:1], null, 0xc0, s20, v[0:1]
	v_mul_f64 v[16:17], v[17:18], s[26:27]
	v_mul_f16_sdwa v18, v2, v11 dst_sel:DWORD dst_unused:UNUSED_PAD src0_sel:DWORD src1_sel:WORD_1
	v_add_co_u32 v2, vcc_lo, v6, v12
	v_add_co_ci_u32_e32 v3, vcc_lo, v7, v13, vcc_lo
	v_lshrrev_b32_e32 v13, v30, v29
	v_cmp_lt_i32_e32 vcc_lo, 5, v25
	v_cmp_eq_u32_e64 s0, 3, v25
	v_lshrrev_b32_e32 v12, 2, v22
	v_fma_f16 v11, v11, v21, -v18
	v_lshlrev_b32_e32 v18, v30, v13
	global_load_dword v21, v28, s[24:25] offset:960
	s_or_b32 vcc_lo, s0, vcc_lo
	global_store_dword v[2:3], v23, off
	v_add_co_ci_u32_e32 v22, vcc_lo, 0, v12, vcc_lo
	v_cmp_ne_u32_e32 vcc_lo, v18, v29
	v_cvt_f32_f16_e32 v11, v11
	v_lshl_or_b32 v3, v24, 12, v14
	v_add_nc_u32_e32 v1, s2, v1
	v_cndmask_b32_e64 v18, 0, 1, vcc_lo
	v_cmp_gt_i32_e32 vcc_lo, 31, v19
	v_cvt_f64_f32_e32 v[11:12], v11
	v_bfe_u32 v23, v17, 20, 11
	v_or_b32_e32 v2, v13, v18
	v_cndmask_b32_e32 v22, 0x7c00, v22, vcc_lo
	v_cmp_ne_u32_e32 vcc_lo, 0, v20
	v_and_or_b32 v13, 0x1ff, v17, v16
	v_lshrrev_b32_e32 v20, 8, v17
	v_cndmask_b32_e64 v16, 0, 1, vcc_lo
	v_cmp_gt_i32_e32 vcc_lo, 1, v24
	v_lshl_or_b32 v16, v16, 9, 0x7c00
	v_cndmask_b32_e32 v18, v3, v2, vcc_lo
	v_cmp_ne_u32_e32 vcc_lo, 0, v13
	ds_read2_b32 v[2:3], v5 offset0:168 offset1:192
	v_cndmask_b32_e64 v16, v22, v16, s1
	v_and_b32_e32 v25, 7, v18
	v_cndmask_b32_e64 v13, 0, 1, vcc_lo
	v_mul_f64 v[11:12], v[11:12], s[26:27]
	v_lshrrev_b32_e32 v18, 2, v18
	v_and_or_b32 v4, 0x8000, v4, v16
	v_cmp_lt_i32_e32 vcc_lo, 5, v25
	v_and_or_b32 v20, 0xffe, v20, v13
	v_sub_nc_u32_e32 v13, 0x3f1, v23
	v_cmp_eq_u32_e64 s0, 3, v25
	v_add_nc_u32_e32 v23, 0xfffffc10, v23
	v_and_b32_e32 v4, 0xffff, v4
	v_or_b32_e32 v25, 0x1000, v20
	v_med3_i32 v13, v13, 0, 13
	s_or_b32 vcc_lo, s0, vcc_lo
	v_add_co_ci_u32_e32 v18, vcc_lo, 0, v18, vcc_lo
	v_lshrrev_b32_e32 v19, v13, v25
	v_cmp_ne_u32_e32 vcc_lo, 0, v14
	s_waitcnt lgkmcnt(0)
	v_lshrrev_b32_e32 v22, 16, v2
	v_lshlrev_b32_e32 v13, v13, v19
	v_cndmask_b32_e64 v14, 0, 1, vcc_lo
	v_cmp_gt_i32_e32 vcc_lo, 31, v24
	v_and_or_b32 v11, 0x1ff, v12, v11
	v_lshl_or_b32 v14, v14, 9, 0x7c00
	v_cndmask_b32_e32 v18, 0x7c00, v18, vcc_lo
	v_cmp_ne_u32_e32 vcc_lo, v13, v25
	s_waitcnt vmcnt(3)
	v_mul_f16_sdwa v25, v22, v10 dst_sel:DWORD dst_unused:UNUSED_PAD src0_sel:DWORD src1_sel:WORD_1
	v_cndmask_b32_e64 v13, 0, 1, vcc_lo
	v_cmp_eq_u32_e32 vcc_lo, 0x40f, v24
	v_fmac_f16_e32 v25, v2, v10
	v_lshrrev_b32_e32 v24, 8, v12
	v_mul_f16_sdwa v2, v2, v10 dst_sel:DWORD dst_unused:UNUSED_PAD src0_sel:DWORD src1_sel:WORD_1
	v_or_b32_e32 v13, v19, v13
	v_cndmask_b32_e32 v18, v18, v14, vcc_lo
	v_cmp_ne_u32_e32 vcc_lo, 0, v11
	v_lshl_or_b32 v14, v23, 12, v20
	v_cvt_f32_f16_e32 v19, v25
	v_bfe_u32 v25, v12, 20, 11
	v_and_or_b32 v15, 0x8000, v15, v18
	v_cndmask_b32_e64 v11, 0, 1, vcc_lo
	v_cmp_gt_i32_e32 vcc_lo, 1, v23
	v_fma_f16 v2, v10, v22, -v2
	v_lshrrev_b32_e32 v12, 16, v12
	v_lshl_or_b32 v4, v15, 16, v4
	v_lshrrev_b32_e32 v15, 16, v17
	v_cndmask_b32_e32 v29, v14, v13, vcc_lo
	v_cvt_f64_f32_e32 v[13:14], v19
	v_and_or_b32 v19, 0xffe, v24, v11
	v_sub_nc_u32_e32 v11, 0x3f1, v25
	v_cvt_f32_f16_e32 v2, v2
	v_and_b32_e32 v24, 7, v29
	v_lshrrev_b32_e32 v29, 2, v29
	v_or_b32_e32 v16, 0x1000, v19
	v_med3_i32 v11, v11, 0, 13
	v_cmp_lt_i32_e32 vcc_lo, 5, v24
	v_cmp_eq_u32_e64 s0, 3, v24
	global_load_dword v24, v28, s[24:25] offset:1056
	v_lshrrev_b32_e32 v18, v11, v16
	s_or_b32 vcc_lo, s0, vcc_lo
	v_lshlrev_b32_e32 v22, v11, v18
	v_add_co_ci_u32_e32 v29, vcc_lo, 0, v29, vcc_lo
	v_cmp_ne_u32_e32 vcc_lo, v22, v16
	v_mul_f64 v[10:11], v[13:14], s[26:27]
	v_cvt_f64_f32_e32 v[13:14], v2
	v_add_nc_u32_e32 v22, 0xfffffc10, v25
	v_cndmask_b32_e64 v16, 0, 1, vcc_lo
	v_cmp_ne_u32_e32 vcc_lo, 0, v20
	v_or_b32_e32 v16, v18, v16
	v_cndmask_b32_e64 v2, 0, 1, vcc_lo
	v_cmp_gt_i32_e32 vcc_lo, 31, v23
	v_lshl_or_b32 v18, v22, 12, v19
	v_lshl_or_b32 v2, v2, 9, 0x7c00
	v_cndmask_b32_e32 v20, 0x7c00, v29, vcc_lo
	v_cmp_gt_i32_e32 vcc_lo, 1, v22
	v_cndmask_b32_e32 v16, v18, v16, vcc_lo
	v_cmp_eq_u32_e32 vcc_lo, 0x40f, v23
	global_load_dword v23, v28, s[24:25] offset:1152
	v_and_or_b32 v10, 0x1ff, v11, v10
	v_mul_f64 v[13:14], v[13:14], s[26:27]
	v_and_b32_e32 v17, 7, v16
	v_cndmask_b32_e32 v2, v20, v2, vcc_lo
	v_lshrrev_b32_e32 v20, 16, v3
	v_cmp_ne_u32_e64 s1, 0, v10
	v_cmp_lt_i32_e32 vcc_lo, 5, v17
	v_cmp_eq_u32_e64 s0, 3, v17
	v_and_or_b32 v2, 0x8000, v15, v2
	v_lshrrev_b32_e32 v15, 2, v16
	v_cndmask_b32_e64 v10, 0, 1, s1
	v_lshrrev_b32_e32 v16, 8, v11
	v_bfe_u32 v17, v11, 20, 11
	s_or_b32 vcc_lo, s0, vcc_lo
	s_waitcnt vmcnt(4)
	v_mul_f16_sdwa v25, v20, v9 dst_sel:DWORD dst_unused:UNUSED_PAD src0_sel:DWORD src1_sel:WORD_1
	v_add_co_ci_u32_e32 v15, vcc_lo, 0, v15, vcc_lo
	v_cmp_ne_u32_e32 vcc_lo, 0, v19
	v_and_or_b32 v18, 0xffe, v16, v10
	v_sub_nc_u32_e32 v10, 0x3f1, v17
	v_fmac_f16_e32 v25, v3, v9
	v_add_nc_u32_e32 v17, 0xfffffc10, v17
	v_cndmask_b32_e64 v16, 0, 1, vcc_lo
	v_cmp_gt_i32_e32 vcc_lo, 31, v22
	v_or_b32_e32 v19, 0x1000, v18
	v_med3_i32 v10, v10, 0, 13
	v_and_or_b32 v13, 0x1ff, v14, v13
	v_lshl_or_b32 v16, v16, 9, 0x7c00
	v_cndmask_b32_e32 v15, 0x7c00, v15, vcc_lo
	v_cmp_eq_u32_e32 vcc_lo, 0x40f, v22
	v_lshrrev_b32_e32 v28, v10, v19
	v_bfe_u32 v29, v14, 20, 11
	v_mul_f16_sdwa v3, v3, v9 dst_sel:DWORD dst_unused:UNUSED_PAD src0_sel:DWORD src1_sel:WORD_1
	v_and_b32_e32 v2, 0xffff, v2
	v_cndmask_b32_e32 v22, v15, v16, vcc_lo
	v_cvt_f32_f16_e32 v15, v25
	v_lshlrev_b32_e32 v10, v10, v28
	v_cmp_ne_u32_e32 vcc_lo, 0, v13
	v_lshrrev_b32_e32 v25, 8, v14
	v_fma_f16 v3, v9, v20, -v3
	v_cvt_f64_f32_e32 v[15:16], v15
	v_lshrrev_b32_e32 v11, 16, v11
	v_cndmask_b32_e64 v13, 0, 1, vcc_lo
	v_cmp_ne_u32_e32 vcc_lo, v10, v19
	v_lshrrev_b32_e32 v14, 16, v14
	v_and_or_b32 v19, 0xffe, v25, v13
	v_cndmask_b32_e64 v10, 0, 1, vcc_lo
	v_sub_nc_u32_e32 v13, 0x3f1, v29
	v_lshl_or_b32 v25, v17, 12, v18
	v_cmp_gt_i32_e32 vcc_lo, 1, v17
	v_or_b32_e32 v10, v28, v10
	v_or_b32_e32 v28, 0x1000, v19
	v_med3_i32 v13, v13, 0, 13
	v_cndmask_b32_e32 v25, v25, v10, vcc_lo
	v_and_or_b32 v10, 0x8000, v12, v22
	v_lshrrev_b32_e32 v20, v13, v28
	v_and_b32_e32 v9, 7, v25
	v_lshl_or_b32 v22, v10, 16, v2
	v_cvt_f32_f16_e32 v10, v3
	v_mul_f64 v[2:3], v[15:16], s[26:27]
	v_lshlrev_b32_e32 v12, v13, v20
	v_cmp_lt_i32_e32 vcc_lo, 5, v9
	v_cmp_eq_u32_e64 s0, 3, v9
	v_cvt_f64_f32_e32 v[9:10], v10
	v_lshrrev_b32_e32 v16, 2, v25
	v_cmp_ne_u32_e64 s1, v12, v28
	v_add_nc_u32_e32 v28, 0xfffffc10, v29
	s_or_b32 vcc_lo, s0, vcc_lo
	v_add_co_ci_u32_e32 v16, vcc_lo, 0, v16, vcc_lo
	v_cndmask_b32_e64 v15, 0, 1, s1
	v_cmp_ne_u32_e32 vcc_lo, 0, v18
	v_add_co_u32 v12, s1, v0, s19
	v_add_co_ci_u32_e64 v13, s1, s22, v1, s1
	v_or_b32_e32 v15, v20, v15
	v_lshl_or_b32 v20, v28, 12, v19
	v_cndmask_b32_e64 v18, 0, 1, vcc_lo
	v_cmp_gt_i32_e32 vcc_lo, 1, v28
	v_and_or_b32 v2, 0x1ff, v3, v2
	v_lshrrev_b32_e32 v30, 8, v3
	v_bfe_u32 v31, v3, 20, 11
	v_lshl_or_b32 v18, v18, 9, 0x7c00
	v_cndmask_b32_e32 v20, v20, v15, vcc_lo
	v_cmp_gt_i32_e32 vcc_lo, 31, v17
	v_mul_f64 v[9:10], v[9:10], s[26:27]
	v_and_b32_e32 v29, 7, v20
	v_cndmask_b32_e32 v25, 0x7c00, v16, vcc_lo
	v_cmp_ne_u32_e32 vcc_lo, 0, v2
	ds_read2_b32 v[15:16], v5 offset0:216 offset1:240
	global_store_dword v[0:1], v4, off
	global_store_dword v[12:13], v22, off
	v_cmp_eq_u32_e64 s0, 3, v29
	v_add_nc_u32_e32 v5, 0x400, v5
	v_cndmask_b32_e64 v2, 0, 1, vcc_lo
	v_cmp_eq_u32_e32 vcc_lo, 0x40f, v17
	v_sub_nc_u32_e32 v17, 0x3f1, v31
	v_add_nc_u32_e32 v31, 0xfffffc10, v31
	v_and_or_b32 v2, 0xffe, v30, v2
	v_cndmask_b32_e32 v25, v25, v18, vcc_lo
	v_cmp_lt_i32_e32 vcc_lo, 5, v29
	v_lshrrev_b32_e32 v18, 2, v20
	v_med3_i32 v17, v17, 0, 13
	v_or_b32_e32 v20, 0x1000, v2
	v_and_or_b32 v11, 0x8000, v11, v25
	s_or_b32 vcc_lo, s0, vcc_lo
	v_and_or_b32 v9, 0x1ff, v10, v9
	v_add_co_ci_u32_e32 v18, vcc_lo, 0, v18, vcc_lo
	v_cmp_ne_u32_e32 vcc_lo, 0, v19
	s_waitcnt lgkmcnt(0)
	v_lshrrev_b32_e32 v29, 16, v15
	v_lshrrev_b32_e32 v30, v17, v20
	;; [unrolled: 1-line block ×3, first 2 shown]
	v_bfe_u32 v34, v10, 20, 11
	v_cndmask_b32_e64 v19, 0, 1, vcc_lo
	v_cmp_gt_i32_e32 vcc_lo, 31, v28
	s_waitcnt vmcnt(3)
	v_mul_f16_sdwa v32, v29, v8 dst_sel:DWORD dst_unused:UNUSED_PAD src0_sel:DWORD src1_sel:WORD_1
	v_lshlrev_b32_e32 v17, v17, v30
	v_and_b32_e32 v11, 0xffff, v11
	v_lshl_or_b32 v19, v19, 9, 0x7c00
	v_cndmask_b32_e32 v18, 0x7c00, v18, vcc_lo
	v_cmp_ne_u32_e32 vcc_lo, 0, v9
	v_fmac_f16_e32 v32, v15, v8
	v_mul_f16_sdwa v15, v15, v8 dst_sel:DWORD dst_unused:UNUSED_PAD src0_sel:DWORD src1_sel:WORD_1
	v_lshrrev_b32_e32 v22, 16, v10
	v_cndmask_b32_e64 v9, 0, 1, vcc_lo
	v_cmp_eq_u32_e32 vcc_lo, 0x40f, v28
	v_fma_f16 v8, v8, v29, -v15
	v_and_or_b32 v28, 0xffe, v33, v9
	v_cndmask_b32_e32 v19, v18, v19, vcc_lo
	v_cvt_f32_f16_e32 v18, v32
	v_sub_nc_u32_e32 v9, 0x3f1, v34
	v_cmp_ne_u32_e32 vcc_lo, v17, v20
	v_or_b32_e32 v32, 0x1000, v28
	v_and_or_b32 v14, 0x8000, v14, v19
	v_cvt_f64_f32_e32 v[17:18], v18
	v_med3_i32 v9, v9, 0, 13
	v_cndmask_b32_e64 v20, 0, 1, vcc_lo
	v_cmp_gt_i32_e32 vcc_lo, 1, v31
	v_lshl_or_b32 v14, v14, 16, v11
	v_add_nc_u32_e32 v11, 0xfffffc10, v34
	v_lshrrev_b32_e32 v25, v9, v32
	v_or_b32_e32 v20, v30, v20
	v_lshl_or_b32 v30, v31, 12, v2
	v_cvt_f32_f16_e32 v8, v8
	v_cmp_gt_i32_e64 s1, 1, v11
	v_lshlrev_b32_e32 v9, v9, v25
	v_cndmask_b32_e32 v19, v30, v20, vcc_lo
	v_cmp_ne_u32_e32 vcc_lo, v9, v32
	v_and_b32_e32 v4, 7, v19
	v_cndmask_b32_e64 v9, 0, 1, vcc_lo
	v_mul_f64 v[0:1], v[17:18], s[26:27]
	v_cmp_lt_i32_e32 vcc_lo, 5, v4
	v_cmp_eq_u32_e64 s0, 3, v4
	v_lshrrev_b32_e32 v4, 2, v19
	v_or_b32_e32 v9, v25, v9
	v_lshl_or_b32 v17, v11, 12, v28
	v_lshrrev_b32_e32 v19, 16, v3
	s_or_b32 vcc_lo, s0, vcc_lo
	v_add_co_ci_u32_e32 v4, vcc_lo, 0, v4, vcc_lo
	v_cndmask_b32_e64 v15, v17, v9, s1
	v_cmp_ne_u32_e32 vcc_lo, 0, v2
	v_cvt_f64_f32_e32 v[8:9], v8
	v_cmp_eq_u32_e64 s1, 0x40f, v31
	v_and_b32_e32 v17, 7, v15
	v_cndmask_b32_e64 v2, 0, 1, vcc_lo
	v_cmp_gt_i32_e32 vcc_lo, 31, v31
	v_lshrrev_b32_e32 v15, 2, v15
	v_cmp_eq_u32_e64 s0, 3, v17
	v_lshl_or_b32 v2, v2, 9, 0x7c00
	v_cndmask_b32_e32 v4, 0x7c00, v4, vcc_lo
	v_cmp_lt_i32_e32 vcc_lo, 5, v17
	v_and_or_b32 v0, 0x1ff, v1, v0
	v_bfe_u32 v17, v1, 20, 11
	v_cndmask_b32_e64 v4, v4, v2, s1
	s_or_b32 vcc_lo, s0, vcc_lo
	v_add_co_ci_u32_e32 v2, vcc_lo, 0, v15, vcc_lo
	v_cmp_ne_u32_e32 vcc_lo, 0, v0
	v_lshrrev_b32_e32 v15, 8, v1
	v_mul_f64 v[8:9], v[8:9], s[26:27]
	v_cndmask_b32_e64 v0, 0, 1, vcc_lo
	v_cmp_ne_u32_e32 vcc_lo, 0, v28
	v_and_or_b32 v15, 0xffe, v15, v0
	v_sub_nc_u32_e32 v0, 0x3f1, v17
	v_cndmask_b32_e64 v18, 0, 1, vcc_lo
	v_cmp_gt_i32_e32 vcc_lo, 31, v11
	v_add_nc_u32_e32 v17, 0xfffffc10, v17
	v_or_b32_e32 v20, 0x1000, v15
	v_med3_i32 v0, v0, 0, 13
	v_lshl_or_b32 v18, v18, 9, 0x7c00
	v_cndmask_b32_e32 v2, 0x7c00, v2, vcc_lo
	v_cmp_eq_u32_e32 vcc_lo, 0x40f, v11
	v_lshrrev_b32_e32 v25, v0, v20
	v_cndmask_b32_e32 v18, v2, v18, vcc_lo
	v_add_co_u32 v10, vcc_lo, v12, s19
	v_lshlrev_b32_e32 v12, v0, v25
	v_mad_u64_u32 v[2:3], null, s20, v27, 0
	v_add_co_ci_u32_e32 v11, vcc_lo, s22, v13, vcc_lo
	v_cmp_ne_u32_e32 vcc_lo, v12, v20
	v_and_or_b32 v8, 0x1ff, v9, v8
	v_and_or_b32 v13, 0x8000, v19, v4
	v_lshrrev_b32_e32 v19, 16, v16
	v_mov_b32_e32 v0, v3
	v_cndmask_b32_e64 v12, 0, 1, vcc_lo
	v_cmp_ne_u32_e32 vcc_lo, 0, v8
	v_and_or_b32 v18, 0x8000, v22, v18
	s_waitcnt vmcnt(2)
	v_mul_f16_sdwa v20, v19, v21 dst_sel:DWORD dst_unused:UNUSED_PAD src0_sel:DWORD src1_sel:WORD_1
	v_mad_u64_u32 v[3:4], null, s21, v27, v[0:1]
	v_or_b32_e32 v0, v25, v12
	v_lshl_or_b32 v4, v17, 12, v15
	v_cndmask_b32_e64 v8, 0, 1, vcc_lo
	v_lshrrev_b32_e32 v12, 8, v9
	v_bfe_u32 v22, v9, 20, 11
	v_cmp_gt_i32_e32 vcc_lo, 1, v17
	v_fmac_f16_e32 v20, v16, v21
	v_and_b32_e32 v25, 0xffff, v13
	v_and_or_b32 v8, 0xffe, v12, v8
	global_store_dword v[10:11], v14, off
	v_cndmask_b32_e32 v0, v4, v0, vcc_lo
	v_sub_nc_u32_e32 v4, 0x3f1, v22
	v_cvt_f32_f16_e32 v20, v20
	v_or_b32_e32 v27, 0x1000, v8
	v_lshl_or_b32 v18, v18, 16, v25
	v_mul_f16_sdwa v14, v16, v21 dst_sel:DWORD dst_unused:UNUSED_PAD src0_sel:DWORD src1_sel:WORD_1
	v_med3_i32 v4, v4, 0, 13
	v_cvt_f64_f32_e32 v[12:13], v20
	v_and_b32_e32 v20, 7, v0
	v_lshrrev_b32_e32 v0, 2, v0
	v_fma_f16 v14, v21, v19, -v14
	v_lshrrev_b32_e32 v25, v4, v27
	v_add_nc_u32_e32 v16, 0xfffffc10, v22
	v_cmp_lt_i32_e32 vcc_lo, 5, v20
	v_cmp_eq_u32_e64 s0, 3, v20
	v_cvt_f32_f16_e32 v14, v14
	v_lshlrev_b32_e32 v4, v4, v25
	v_lshl_or_b32 v20, v16, 12, v8
	v_lshlrev_b64 v[2:3], 2, v[2:3]
	s_or_b32 vcc_lo, s0, vcc_lo
	v_add_co_ci_u32_e32 v0, vcc_lo, 0, v0, vcc_lo
	v_cmp_ne_u32_e32 vcc_lo, v4, v27
	v_cndmask_b32_e64 v4, 0, 1, vcc_lo
	v_cmp_ne_u32_e32 vcc_lo, 0, v15
	v_cvt_f64_f32_e32 v[14:15], v14
	v_mul_f64 v[12:13], v[12:13], s[26:27]
	v_or_b32_e32 v4, v25, v4
	v_cndmask_b32_e64 v19, 0, 1, vcc_lo
	v_cmp_gt_i32_e32 vcc_lo, 31, v17
	v_lshl_or_b32 v19, v19, 9, 0x7c00
	v_cndmask_b32_e32 v0, 0x7c00, v0, vcc_lo
	v_cmp_gt_i32_e32 vcc_lo, 1, v16
	v_cndmask_b32_e32 v20, v20, v4, vcc_lo
	v_cmp_eq_u32_e32 vcc_lo, 0x40f, v17
	v_lshrrev_b32_e32 v17, 16, v1
	v_cndmask_b32_e32 v4, v0, v19, vcc_lo
	ds_read2_b32 v[0:1], v5 offset0:8 offset1:32
	v_and_b32_e32 v5, 7, v20
	v_add_co_u32 v2, vcc_lo, v6, v2
	v_add_co_ci_u32_e32 v3, vcc_lo, v7, v3, vcc_lo
	v_and_or_b32 v17, 0x8000, v17, v4
	v_cmp_lt_i32_e32 vcc_lo, 5, v5
	v_cmp_eq_u32_e64 s0, 3, v5
	v_mul_f64 v[4:5], v[14:15], s[26:27]
	v_and_or_b32 v12, 0x1ff, v13, v12
	v_lshrrev_b32_e32 v14, 2, v20
	v_lshrrev_b32_e32 v15, 8, v13
	s_or_b32 vcc_lo, s0, vcc_lo
	v_bfe_u32 v19, v13, 20, 11
	v_cmp_ne_u32_e64 s1, 0, v12
	v_add_co_ci_u32_e32 v14, vcc_lo, 0, v14, vcc_lo
	v_cmp_ne_u32_e32 vcc_lo, 0, v8
	v_sub_nc_u32_e32 v20, 0x3f1, v19
	v_cndmask_b32_e64 v12, 0, 1, s1
	v_add_nc_u32_e32 v19, 0xfffffc10, v19
	global_store_dword v[2:3], v18, off
	v_cndmask_b32_e64 v8, 0, 1, vcc_lo
	v_cmp_gt_i32_e32 vcc_lo, 31, v16
	v_and_or_b32 v12, 0xffe, v15, v12
	s_waitcnt lgkmcnt(0)
	v_lshrrev_b32_e32 v15, 16, v0
	v_med3_i32 v20, v20, 0, 13
	v_lshl_or_b32 v8, v8, 9, 0x7c00
	v_cndmask_b32_e32 v14, 0x7c00, v14, vcc_lo
	v_or_b32_e32 v21, 0x1000, v12
	s_waitcnt vmcnt(1)
	v_mul_f16_sdwa v22, v15, v24 dst_sel:DWORD dst_unused:UNUSED_PAD src0_sel:DWORD src1_sel:WORD_1
	v_and_or_b32 v4, 0x1ff, v5, v4
	v_cmp_eq_u32_e32 vcc_lo, 0x40f, v16
	v_lshrrev_b32_e32 v16, 16, v9
	v_lshrrev_b32_e32 v25, v20, v21
	v_fmac_f16_e32 v22, v0, v24
	v_bfe_u32 v27, v5, 20, 11
	v_cndmask_b32_e32 v14, v14, v8, vcc_lo
	v_cmp_ne_u32_e32 vcc_lo, 0, v4
	v_lshlrev_b32_e32 v20, v20, v25
	v_cvt_f32_f16_e32 v8, v22
	v_lshrrev_b32_e32 v22, 8, v5
	v_and_or_b32 v14, 0x8000, v16, v14
	v_cndmask_b32_e64 v4, 0, 1, vcc_lo
	v_cmp_ne_u32_e32 vcc_lo, v20, v21
	v_cvt_f64_f32_e32 v[8:9], v8
	v_sub_nc_u32_e32 v16, 0x3f1, v27
	v_lshl_or_b32 v21, v19, 12, v12
	v_and_or_b32 v4, 0xffe, v22, v4
	v_cndmask_b32_e64 v20, 0, 1, vcc_lo
	v_cmp_gt_i32_e32 vcc_lo, 1, v19
	v_med3_i32 v16, v16, 0, 13
	v_and_b32_e32 v17, 0xffff, v17
	v_or_b32_e32 v22, 0x1000, v4
	v_or_b32_e32 v20, v25, v20
	v_mul_f16_sdwa v0, v0, v24 dst_sel:DWORD dst_unused:UNUSED_PAD src0_sel:DWORD src1_sel:WORD_1
	v_lshrrev_b32_e32 v5, 16, v5
	v_lshl_or_b32 v17, v14, 16, v17
	v_lshrrev_b32_e32 v18, v16, v22
	v_cndmask_b32_e32 v20, v21, v20, vcc_lo
	v_fma_f16 v0, v24, v15, -v0
	v_lshlrev_b32_e32 v16, v16, v18
	v_and_b32_e32 v14, 7, v20
	v_cvt_f32_f16_e32 v0, v0
	v_mul_f64 v[2:3], v[8:9], s[26:27]
	v_cmp_ne_u32_e64 s0, v16, v22
	v_mad_u64_u32 v[8:9], null, 0xc0, s20, v[10:11]
	v_cmp_lt_i32_e32 vcc_lo, 5, v14
	v_add_nc_u32_e32 v16, 0xfffffc10, v27
	v_cndmask_b32_e64 v10, 0, 1, s0
	v_cmp_eq_u32_e64 s0, 3, v14
	v_lshrrev_b32_e32 v14, 2, v20
	v_add_nc_u32_e32 v9, s2, v9
	v_or_b32_e32 v15, v18, v10
	s_or_b32 vcc_lo, s0, vcc_lo
	v_cvt_f64_f32_e32 v[10:11], v0
	v_add_co_ci_u32_e32 v0, vcc_lo, 0, v14, vcc_lo
	v_cmp_ne_u32_e32 vcc_lo, 0, v12
	v_lshl_or_b32 v18, v16, 12, v4
	v_cndmask_b32_e64 v12, 0, 1, vcc_lo
	v_cmp_gt_i32_e32 vcc_lo, 1, v16
	v_and_or_b32 v2, 0x1ff, v3, v2
	v_lshrrev_b32_e32 v20, 8, v3
	v_bfe_u32 v21, v3, 20, 11
	v_lshl_or_b32 v12, v12, 9, 0x7c00
	v_cndmask_b32_e32 v14, v18, v15, vcc_lo
	v_cmp_gt_i32_e32 vcc_lo, 31, v19
	v_lshrrev_b32_e32 v18, 16, v1
	v_lshrrev_b32_e32 v3, 16, v3
	v_and_b32_e32 v15, 7, v14
	v_cndmask_b32_e32 v0, 0x7c00, v0, vcc_lo
	v_cmp_ne_u32_e32 vcc_lo, 0, v2
	v_mul_f64 v[10:11], v[10:11], s[26:27]
	v_lshrrev_b32_e32 v14, 2, v14
	v_cmp_eq_u32_e64 s0, 3, v15
	v_cndmask_b32_e64 v2, 0, 1, vcc_lo
	v_cmp_eq_u32_e32 vcc_lo, 0x40f, v19
	v_and_or_b32 v2, 0xffe, v20, v2
	v_cndmask_b32_e32 v19, v0, v12, vcc_lo
	s_waitcnt vmcnt(0)
	v_mul_f16_sdwa v0, v18, v23 dst_sel:DWORD dst_unused:UNUSED_PAD src0_sel:DWORD src1_sel:WORD_1
	v_sub_nc_u32_e32 v12, 0x3f1, v21
	v_cmp_lt_i32_e32 vcc_lo, 5, v15
	v_or_b32_e32 v20, 0x1000, v2
	v_fmac_f16_e32 v0, v1, v23
	v_med3_i32 v12, v12, 0, 13
	s_or_b32 vcc_lo, s0, vcc_lo
	v_mul_f16_sdwa v1, v1, v23 dst_sel:DWORD dst_unused:UNUSED_PAD src0_sel:DWORD src1_sel:WORD_1
	v_add_co_ci_u32_e32 v22, vcc_lo, 0, v14, vcc_lo
	v_cvt_f32_f16_e32 v0, v0
	v_lshrrev_b32_e32 v24, v12, v20
	v_cmp_ne_u32_e32 vcc_lo, 0, v4
	v_lshrrev_b32_e32 v4, 16, v13
	v_and_or_b32 v10, 0x1ff, v11, v10
	v_cvt_f64_f32_e32 v[14:15], v0
	v_lshlrev_b32_e32 v12, v12, v24
	v_cndmask_b32_e64 v0, 0, 1, vcc_lo
	v_cmp_gt_i32_e32 vcc_lo, 31, v16
	v_fma_f16 v1, v23, v18, -v1
	v_bfe_u32 v23, v11, 20, 11
	v_and_or_b32 v4, 0x8000, v4, v19
	v_lshl_or_b32 v0, v0, 9, 0x7c00
	v_cndmask_b32_e32 v13, 0x7c00, v22, vcc_lo
	v_cmp_ne_u32_e32 vcc_lo, v12, v20
	v_add_nc_u32_e32 v20, 0xfffffc10, v21
	v_lshrrev_b32_e32 v22, 8, v11
	v_and_b32_e32 v4, 0xffff, v4
	v_lshrrev_b32_e32 v11, 16, v11
	v_cndmask_b32_e64 v12, 0, 1, vcc_lo
	v_cmp_eq_u32_e32 vcc_lo, 0x40f, v16
	v_lshl_or_b32 v21, v20, 12, v2
	v_or_b32_e32 v18, v24, v12
	v_cndmask_b32_e32 v16, v13, v0, vcc_lo
	v_cmp_ne_u32_e32 vcc_lo, 0, v10
	v_cvt_f32_f16_e32 v12, v1
	v_mul_f64 v[0:1], v[14:15], s[26:27]
	v_sub_nc_u32_e32 v15, 0x3f1, v23
	v_and_or_b32 v5, 0x8000, v5, v16
	v_cndmask_b32_e64 v10, 0, 1, vcc_lo
	v_cmp_gt_i32_e32 vcc_lo, 1, v20
	v_cvt_f64_f32_e32 v[12:13], v12
	v_med3_i32 v15, v15, 0, 13
	v_lshl_or_b32 v19, v5, 16, v4
	v_and_or_b32 v10, 0xffe, v22, v10
	v_cndmask_b32_e32 v14, v21, v18, vcc_lo
	v_or_b32_e32 v16, 0x1000, v10
	v_and_b32_e32 v18, 7, v14
	v_lshrrev_b32_e32 v14, 2, v14
	v_cmp_lt_i32_e32 vcc_lo, 5, v18
	v_cmp_eq_u32_e64 s0, 3, v18
	v_lshrrev_b32_e32 v18, v15, v16
	v_and_or_b32 v0, 0x1ff, v1, v0
	s_or_b32 vcc_lo, s0, vcc_lo
	v_lshlrev_b32_e32 v15, v15, v18
	v_add_co_ci_u32_e32 v14, vcc_lo, 0, v14, vcc_lo
	v_cmp_gt_i32_e32 vcc_lo, 31, v20
	v_mul_f64 v[4:5], v[12:13], s[26:27]
	v_cndmask_b32_e32 v12, 0x7c00, v14, vcc_lo
	v_cmp_ne_u32_e32 vcc_lo, v15, v16
	v_add_nc_u32_e32 v14, 0xfffffc10, v23
	v_lshrrev_b32_e32 v15, 8, v1
	v_bfe_u32 v16, v1, 20, 11
	v_cndmask_b32_e64 v13, 0, 1, vcc_lo
	v_cmp_ne_u32_e32 vcc_lo, 0, v0
	v_cmp_eq_u32_e64 s1, 0x40f, v14
	v_or_b32_e32 v13, v18, v13
	v_cndmask_b32_e64 v0, 0, 1, vcc_lo
	v_cmp_ne_u32_e32 vcc_lo, 0, v2
	v_lshl_or_b32 v18, v14, 12, v10
	v_and_or_b32 v0, 0xffe, v15, v0
	v_cndmask_b32_e64 v2, 0, 1, vcc_lo
	v_sub_nc_u32_e32 v15, 0x3f1, v16
	v_cmp_gt_i32_e32 vcc_lo, 1, v14
	v_and_or_b32 v4, 0x1ff, v5, v4
	v_lshrrev_b32_e32 v21, 8, v5
	v_lshl_or_b32 v2, v2, 9, 0x7c00
	v_med3_i32 v15, v15, 0, 13
	v_cndmask_b32_e32 v13, v18, v13, vcc_lo
	v_or_b32_e32 v18, 0x1000, v0
	v_cmp_eq_u32_e32 vcc_lo, 0x40f, v20
	v_bfe_u32 v22, v5, 20, 11
	v_lshrrev_b32_e32 v5, 16, v5
	v_lshrrev_b32_e32 v20, v15, v18
	v_cndmask_b32_e32 v2, v12, v2, vcc_lo
	v_cmp_ne_u32_e32 vcc_lo, 0, v4
	v_and_b32_e32 v12, 7, v13
	v_lshlrev_b32_e32 v15, v15, v20
	v_and_or_b32 v23, 0x8000, v3, v2
	v_cndmask_b32_e64 v4, 0, 1, vcc_lo
	v_cmp_lt_i32_e32 vcc_lo, 5, v12
	v_sub_nc_u32_e32 v2, 0x3f1, v22
	v_cmp_ne_u32_e64 s0, v15, v18
	v_add_nc_u32_e32 v15, 0xfffffc10, v16
	v_and_or_b32 v4, 0xffe, v21, v4
	v_med3_i32 v2, v2, 0, 13
	v_cndmask_b32_e64 v3, 0, 1, s0
	v_cmp_eq_u32_e64 s0, 3, v12
	v_lshrrev_b32_e32 v12, 2, v13
	v_or_b32_e32 v16, 0x1000, v4
	v_lshl_or_b32 v13, v15, 12, v0
	v_or_b32_e32 v3, v20, v3
	s_or_b32 vcc_lo, s0, vcc_lo
	v_add_co_ci_u32_e32 v12, vcc_lo, 0, v12, vcc_lo
	v_cmp_gt_i32_e32 vcc_lo, 1, v15
	v_lshrrev_b32_e32 v18, v2, v16
	v_cndmask_b32_e32 v3, v13, v3, vcc_lo
	v_cmp_gt_i32_e32 vcc_lo, 31, v14
	v_lshlrev_b32_e32 v2, v2, v18
	v_lshrrev_b32_e32 v14, 16, v1
	v_and_b32_e32 v13, 7, v3
	v_cndmask_b32_e32 v12, 0x7c00, v12, vcc_lo
	v_cmp_ne_u32_e32 vcc_lo, 0, v10
	v_lshrrev_b32_e32 v3, 2, v3
	v_cmp_eq_u32_e64 s0, 3, v13
	v_cndmask_b32_e64 v10, 0, 1, vcc_lo
	v_cmp_ne_u32_e32 vcc_lo, v2, v16
	v_add_nc_u32_e32 v16, 0xfffffc10, v22
	v_lshl_or_b32 v10, v10, 9, 0x7c00
	v_cndmask_b32_e64 v2, 0, 1, vcc_lo
	v_cmp_lt_i32_e32 vcc_lo, 5, v13
	v_lshl_or_b32 v13, v16, 12, v4
	v_cndmask_b32_e64 v10, v12, v10, s1
	v_or_b32_e32 v2, v18, v2
	v_cmp_gt_i32_e64 s1, 1, v16
	s_or_b32 vcc_lo, s0, vcc_lo
	v_and_or_b32 v10, 0x8000, v11, v10
	v_and_b32_e32 v11, 0xffff, v23
	v_cndmask_b32_e64 v12, v13, v2, s1
	v_add_co_ci_u32_e32 v2, vcc_lo, 0, v3, vcc_lo
	v_cmp_ne_u32_e32 vcc_lo, 0, v0
	v_cmp_eq_u32_e64 s1, 0x40f, v15
	v_and_b32_e32 v3, 7, v12
	v_lshrrev_b32_e32 v12, 2, v12
	v_lshl_or_b32 v10, v10, 16, v11
	v_cndmask_b32_e64 v0, 0, 1, vcc_lo
	v_cmp_gt_i32_e32 vcc_lo, 31, v15
	v_cmp_eq_u32_e64 s0, 3, v3
	v_lshl_or_b32 v0, v0, 9, 0x7c00
	v_cndmask_b32_e32 v13, 0x7c00, v2, vcc_lo
	v_cmp_lt_i32_e32 vcc_lo, 5, v3
	v_mad_u64_u32 v[2:3], null, s20, v26, 0
	v_cndmask_b32_e64 v13, v13, v0, s1
	s_or_b32 vcc_lo, s0, vcc_lo
	v_add_co_ci_u32_e32 v1, vcc_lo, 0, v12, vcc_lo
	v_cmp_ne_u32_e32 vcc_lo, 0, v4
	v_mov_b32_e32 v0, v3
	v_and_or_b32 v12, 0x8000, v14, v13
	v_cndmask_b32_e64 v3, 0, 1, vcc_lo
	v_cmp_gt_i32_e32 vcc_lo, 31, v16
	v_and_b32_e32 v12, 0xffff, v12
	v_cndmask_b32_e32 v4, 0x7c00, v1, vcc_lo
	v_mad_u64_u32 v[0:1], null, s21, v26, v[0:1]
	v_lshl_or_b32 v1, v3, 9, 0x7c00
	v_cmp_eq_u32_e32 vcc_lo, 0x40f, v16
	v_mov_b32_e32 v3, v0
	v_cndmask_b32_e32 v4, v4, v1, vcc_lo
	v_add_co_u32 v0, vcc_lo, v8, s19
	v_add_co_ci_u32_e32 v1, vcc_lo, s22, v9, vcc_lo
	v_lshlrev_b64 v[2:3], 2, v[2:3]
	v_and_or_b32 v11, 0x8000, v5, v4
	v_add_co_u32 v4, vcc_lo, v0, s19
	v_add_co_ci_u32_e32 v5, vcc_lo, s22, v1, vcc_lo
	v_add_co_u32 v2, vcc_lo, v6, v2
	v_lshl_or_b32 v11, v11, 16, v12
	v_add_co_ci_u32_e32 v3, vcc_lo, v7, v3, vcc_lo
	global_store_dword v[8:9], v17, off
	global_store_dword v[0:1], v19, off
	;; [unrolled: 1-line block ×4, first 2 shown]
.LBB0_15:
	s_endpgm
	.section	.rodata,"a",@progbits
	.p2align	6, 0x0
	.amdhsa_kernel bluestein_single_back_len312_dim1_half_op_CI_CI
		.amdhsa_group_segment_fixed_size 2496
		.amdhsa_private_segment_fixed_size 0
		.amdhsa_kernarg_size 104
		.amdhsa_user_sgpr_count 6
		.amdhsa_user_sgpr_private_segment_buffer 1
		.amdhsa_user_sgpr_dispatch_ptr 0
		.amdhsa_user_sgpr_queue_ptr 0
		.amdhsa_user_sgpr_kernarg_segment_ptr 1
		.amdhsa_user_sgpr_dispatch_id 0
		.amdhsa_user_sgpr_flat_scratch_init 0
		.amdhsa_user_sgpr_private_segment_size 0
		.amdhsa_wavefront_size32 1
		.amdhsa_uses_dynamic_stack 0
		.amdhsa_system_sgpr_private_segment_wavefront_offset 0
		.amdhsa_system_sgpr_workgroup_id_x 1
		.amdhsa_system_sgpr_workgroup_id_y 0
		.amdhsa_system_sgpr_workgroup_id_z 0
		.amdhsa_system_sgpr_workgroup_info 0
		.amdhsa_system_vgpr_workitem_id 0
		.amdhsa_next_free_vgpr 156
		.amdhsa_next_free_sgpr 28
		.amdhsa_reserve_vcc 1
		.amdhsa_reserve_flat_scratch 0
		.amdhsa_float_round_mode_32 0
		.amdhsa_float_round_mode_16_64 0
		.amdhsa_float_denorm_mode_32 3
		.amdhsa_float_denorm_mode_16_64 3
		.amdhsa_dx10_clamp 1
		.amdhsa_ieee_mode 1
		.amdhsa_fp16_overflow 0
		.amdhsa_workgroup_processor_mode 1
		.amdhsa_memory_ordered 1
		.amdhsa_forward_progress 0
		.amdhsa_shared_vgpr_count 0
		.amdhsa_exception_fp_ieee_invalid_op 0
		.amdhsa_exception_fp_denorm_src 0
		.amdhsa_exception_fp_ieee_div_zero 0
		.amdhsa_exception_fp_ieee_overflow 0
		.amdhsa_exception_fp_ieee_underflow 0
		.amdhsa_exception_fp_ieee_inexact 0
		.amdhsa_exception_int_div_zero 0
	.end_amdhsa_kernel
	.text
.Lfunc_end0:
	.size	bluestein_single_back_len312_dim1_half_op_CI_CI, .Lfunc_end0-bluestein_single_back_len312_dim1_half_op_CI_CI
                                        ; -- End function
	.section	.AMDGPU.csdata,"",@progbits
; Kernel info:
; codeLenInByte = 20952
; NumSgprs: 30
; NumVgprs: 156
; ScratchSize: 0
; MemoryBound: 0
; FloatMode: 240
; IeeeMode: 1
; LDSByteSize: 2496 bytes/workgroup (compile time only)
; SGPRBlocks: 3
; VGPRBlocks: 19
; NumSGPRsForWavesPerEU: 30
; NumVGPRsForWavesPerEU: 156
; Occupancy: 6
; WaveLimiterHint : 1
; COMPUTE_PGM_RSRC2:SCRATCH_EN: 0
; COMPUTE_PGM_RSRC2:USER_SGPR: 6
; COMPUTE_PGM_RSRC2:TRAP_HANDLER: 0
; COMPUTE_PGM_RSRC2:TGID_X_EN: 1
; COMPUTE_PGM_RSRC2:TGID_Y_EN: 0
; COMPUTE_PGM_RSRC2:TGID_Z_EN: 0
; COMPUTE_PGM_RSRC2:TIDIG_COMP_CNT: 0
	.text
	.p2alignl 6, 3214868480
	.fill 48, 4, 3214868480
	.type	__hip_cuid_6b3d3ddf17238ff2,@object ; @__hip_cuid_6b3d3ddf17238ff2
	.section	.bss,"aw",@nobits
	.globl	__hip_cuid_6b3d3ddf17238ff2
__hip_cuid_6b3d3ddf17238ff2:
	.byte	0                               ; 0x0
	.size	__hip_cuid_6b3d3ddf17238ff2, 1

	.ident	"AMD clang version 19.0.0git (https://github.com/RadeonOpenCompute/llvm-project roc-6.4.0 25133 c7fe45cf4b819c5991fe208aaa96edf142730f1d)"
	.section	".note.GNU-stack","",@progbits
	.addrsig
	.addrsig_sym __hip_cuid_6b3d3ddf17238ff2
	.amdgpu_metadata
---
amdhsa.kernels:
  - .args:
      - .actual_access:  read_only
        .address_space:  global
        .offset:         0
        .size:           8
        .value_kind:     global_buffer
      - .actual_access:  read_only
        .address_space:  global
        .offset:         8
        .size:           8
        .value_kind:     global_buffer
      - .actual_access:  read_only
        .address_space:  global
        .offset:         16
        .size:           8
        .value_kind:     global_buffer
      - .actual_access:  read_only
        .address_space:  global
        .offset:         24
        .size:           8
        .value_kind:     global_buffer
      - .actual_access:  read_only
        .address_space:  global
        .offset:         32
        .size:           8
        .value_kind:     global_buffer
      - .offset:         40
        .size:           8
        .value_kind:     by_value
      - .address_space:  global
        .offset:         48
        .size:           8
        .value_kind:     global_buffer
      - .address_space:  global
        .offset:         56
        .size:           8
        .value_kind:     global_buffer
      - .address_space:  global
        .offset:         64
        .size:           8
        .value_kind:     global_buffer
      - .address_space:  global
        .offset:         72
        .size:           8
        .value_kind:     global_buffer
      - .offset:         80
        .size:           4
        .value_kind:     by_value
      - .address_space:  global
        .offset:         88
        .size:           8
        .value_kind:     global_buffer
      - .address_space:  global
        .offset:         96
        .size:           8
        .value_kind:     global_buffer
    .group_segment_fixed_size: 2496
    .kernarg_segment_align: 8
    .kernarg_segment_size: 104
    .language:       OpenCL C
    .language_version:
      - 2
      - 0
    .max_flat_workgroup_size: 52
    .name:           bluestein_single_back_len312_dim1_half_op_CI_CI
    .private_segment_fixed_size: 0
    .sgpr_count:     30
    .sgpr_spill_count: 0
    .symbol:         bluestein_single_back_len312_dim1_half_op_CI_CI.kd
    .uniform_work_group_size: 1
    .uses_dynamic_stack: false
    .vgpr_count:     156
    .vgpr_spill_count: 0
    .wavefront_size: 32
    .workgroup_processor_mode: 1
amdhsa.target:   amdgcn-amd-amdhsa--gfx1030
amdhsa.version:
  - 1
  - 2
...

	.end_amdgpu_metadata
